;; amdgpu-corpus repo=ROCm/rocFFT kind=compiled arch=gfx1201 opt=O3
	.text
	.amdgcn_target "amdgcn-amd-amdhsa--gfx1201"
	.amdhsa_code_object_version 6
	.protected	bluestein_single_back_len1408_dim1_sp_op_CI_CI ; -- Begin function bluestein_single_back_len1408_dim1_sp_op_CI_CI
	.globl	bluestein_single_back_len1408_dim1_sp_op_CI_CI
	.p2align	8
	.type	bluestein_single_back_len1408_dim1_sp_op_CI_CI,@function
bluestein_single_back_len1408_dim1_sp_op_CI_CI: ; @bluestein_single_back_len1408_dim1_sp_op_CI_CI
; %bb.0:
	s_load_b128 s[12:15], s[0:1], 0x28
	v_mul_u32_u24_e32 v1, 0x175, v0
	s_mov_b32 s2, exec_lo
	v_mov_b32_e32 v41, 0
	s_delay_alu instid0(VALU_DEP_2) | instskip(NEXT) | instid1(VALU_DEP_1)
	v_lshrrev_b32_e32 v1, 16, v1
	v_add_nc_u32_e32 v40, ttmp9, v1
	s_wait_kmcnt 0x0
	s_delay_alu instid0(VALU_DEP_1)
	v_cmpx_gt_u64_e64 s[12:13], v[40:41]
	s_cbranch_execz .LBB0_10
; %bb.1:
	s_clause 0x1
	s_load_b128 s[4:7], s[0:1], 0x18
	s_load_b128 s[8:11], s[0:1], 0x0
	v_mul_lo_u16 v1, 0xb0, v1
	s_movk_i32 s2, 0xef80
	s_mov_b32 s3, -1
	s_load_b64 s[0:1], s[0:1], 0x38
                                        ; implicit-def: $vgpr36
                                        ; implicit-def: $vgpr69
	s_delay_alu instid0(VALU_DEP_1) | instskip(NEXT) | instid1(VALU_DEP_1)
	v_sub_nc_u16 v0, v0, v1
	v_and_b32_e32 v81, 0xffff, v0
	s_wait_kmcnt 0x0
	s_load_b128 s[16:19], s[4:5], 0x0
	s_wait_kmcnt 0x0
	v_mad_co_u64_u32 v[1:2], null, s18, v40, 0
	v_mad_co_u64_u32 v[3:4], null, s16, v81, 0
	s_mul_u64 s[4:5], s[16:17], 0x1600
	s_mul_u64 s[2:3], s[16:17], s[2:3]
	s_delay_alu instid0(VALU_DEP_1) | instskip(NEXT) | instid1(VALU_DEP_1)
	v_mad_co_u64_u32 v[5:6], null, s19, v40, v[2:3]
	v_mov_b32_e32 v2, v5
	s_delay_alu instid0(VALU_DEP_3)
	v_mad_co_u64_u32 v[6:7], null, s17, v81, v[4:5]
	v_lshlrev_b32_e32 v82, 3, v81
	s_clause 0x2
	global_load_b64 v[43:44], v82, s[8:9]
	global_load_b64 v[45:46], v82, s[8:9] offset:1408
	global_load_b64 v[47:48], v82, s[8:9] offset:2816
	v_mov_b32_e32 v4, v6
	v_lshlrev_b64_e32 v[1:2], 3, v[1:2]
	s_clause 0x2
	global_load_b64 v[55:56], v82, s[8:9] offset:5632
	global_load_b64 v[49:50], v82, s[8:9] offset:7040
	;; [unrolled: 1-line block ×3, first 2 shown]
	v_lshlrev_b32_e32 v84, 4, v81
	v_add_nc_u32_e32 v72, 0xb0, v81
	v_lshlrev_b64_e32 v[3:4], 3, v[3:4]
	v_add_co_u32 v1, vcc_lo, s14, v1
	v_add_co_ci_u32_e32 v2, vcc_lo, s15, v2, vcc_lo
	s_delay_alu instid0(VALU_DEP_2) | instskip(SKIP_1) | instid1(VALU_DEP_2)
	v_add_co_u32 v1, vcc_lo, v1, v3
	s_wait_alu 0xfffd
	v_add_co_ci_u32_e32 v2, vcc_lo, v2, v4, vcc_lo
	s_delay_alu instid0(VALU_DEP_2)
	v_add_co_u32 v3, vcc_lo, v1, s4
	global_load_b64 v[7:8], v[1:2], off
	s_wait_alu 0xfffd
	v_add_co_ci_u32_e32 v4, vcc_lo, s5, v2, vcc_lo
	v_add_co_u32 v5, vcc_lo, v3, s2
	global_load_b64 v[9:10], v[3:4], off
	s_wait_alu 0xfffd
	v_add_co_ci_u32_e32 v6, vcc_lo, s3, v4, vcc_lo
	v_add_co_u32 v1, vcc_lo, v5, s4
	s_wait_alu 0xfffd
	s_delay_alu instid0(VALU_DEP_2) | instskip(NEXT) | instid1(VALU_DEP_2)
	v_add_co_ci_u32_e32 v2, vcc_lo, s5, v6, vcc_lo
	v_add_co_u32 v3, vcc_lo, v1, s2
	s_clause 0x1
	global_load_b64 v[5:6], v[5:6], off
	global_load_b64 v[11:12], v[1:2], off
	s_wait_alu 0xfffd
	v_add_co_ci_u32_e32 v4, vcc_lo, s3, v2, vcc_lo
	v_add_co_u32 v1, vcc_lo, v3, s4
	s_wait_alu 0xfffd
	s_delay_alu instid0(VALU_DEP_2)
	v_add_co_ci_u32_e32 v2, vcc_lo, s5, v4, vcc_lo
	global_load_b64 v[13:14], v[3:4], off
	v_add_co_u32 v3, vcc_lo, v1, s2
	s_wait_alu 0xfffd
	v_add_co_ci_u32_e32 v4, vcc_lo, s3, v2, vcc_lo
	global_load_b64 v[15:16], v[1:2], off
	v_add_co_u32 v1, vcc_lo, v3, s4
	s_wait_alu 0xfffd
	v_add_co_ci_u32_e32 v2, vcc_lo, s5, v4, vcc_lo
	v_cmp_gt_u16_e32 vcc_lo, 0x80, v0
	s_wait_loadcnt 0x5
	v_mul_f32_e32 v21, v8, v44
	global_load_b64 v[51:52], v82, s[8:9] offset:4224
	global_load_b64 v[17:18], v[3:4], off
	global_load_b64 v[53:54], v82, s[8:9] offset:9856
	global_load_b64 v[19:20], v[1:2], off
	v_dual_mul_f32 v22, v7, v44 :: v_dual_add_nc_u32 v1, 0xa00, v82
	v_dual_fmac_f32 v21, v7, v43 :: v_dual_add_nc_u32 v4, 0x1400, v82
	s_wait_loadcnt 0x8
	v_mul_f32_e32 v24, v9, v56
	v_dual_mul_f32 v7, v10, v56 :: v_dual_add_nc_u32 v2, 0x2000, v82
	v_fma_f32 v22, v8, v43, -v22
	v_add_nc_u32_e32 v3, 0x1a00, v82
	s_load_b128 s[4:7], s[6:7], 0x0
	v_add_co_u32 v79, s2, s8, v82
	v_fmac_f32_e32 v7, v9, v55
	s_wait_loadcnt 0x7
	v_mul_f32_e32 v23, v6, v46
	v_mul_f32_e32 v25, v5, v46
	v_fma_f32 v8, v10, v55, -v24
	s_wait_alu 0xf1ff
	v_add_co_ci_u32_e64 v80, null, s9, 0, s2
	v_fmac_f32_e32 v23, v5, v45
	s_wait_loadcnt 0x6
	v_mul_f32_e32 v5, v12, v50
	v_fma_f32 v24, v6, v45, -v25
	v_mul_f32_e32 v6, v11, v50
	s_wait_loadcnt 0x5
	v_mul_f32_e32 v10, v13, v48
	v_mul_f32_e32 v9, v14, v48
	v_fmac_f32_e32 v5, v11, v49
	v_fma_f32 v6, v12, v49, -v6
	s_wait_loadcnt 0x4
	v_mul_f32_e32 v11, v16, v42
	v_dual_mul_f32 v12, v15, v42 :: v_dual_fmac_f32 v9, v13, v47
	v_fma_f32 v10, v14, v47, -v10
	s_delay_alu instid0(VALU_DEP_3) | instskip(NEXT) | instid1(VALU_DEP_3)
	v_fmac_f32_e32 v11, v15, v41
	v_fma_f32 v12, v16, v41, -v12
	s_wait_loadcnt 0x2
	v_mul_f32_e32 v13, v18, v52
	s_wait_loadcnt 0x0
	v_dual_mul_f32 v14, v17, v52 :: v_dual_mul_f32 v15, v20, v54
	v_mul_f32_e32 v25, v19, v54
	s_delay_alu instid0(VALU_DEP_3) | instskip(NEXT) | instid1(VALU_DEP_3)
	v_fmac_f32_e32 v13, v17, v51
	v_fma_f32 v14, v18, v51, -v14
	s_delay_alu instid0(VALU_DEP_4) | instskip(NEXT) | instid1(VALU_DEP_4)
	v_fmac_f32_e32 v15, v19, v53
	v_fma_f32 v16, v20, v53, -v25
	ds_store_b64 v82, v[7:8] offset:5632
	ds_store_2addr_b64 v82, v[21:22], v[23:24] offset1:176
	ds_store_2addr_b64 v3, v[5:6], v[11:12] offset0:48 offset1:224
	ds_store_2addr_b64 v1, v[9:10], v[13:14] offset0:32 offset1:208
	ds_store_b64 v82, v[15:16] offset:9856
	global_wb scope:SCOPE_SE
	s_wait_dscnt 0x0
	s_wait_kmcnt 0x0
	s_barrier_signal -1
	s_barrier_wait -1
	global_inv scope:SCOPE_SE
	ds_load_2addr_b64 v[5:8], v82 offset1:176
	ds_load_2addr_b64 v[9:12], v4 offset0:64 offset1:240
	ds_load_2addr_b64 v[13:16], v1 offset0:32 offset1:208
	;; [unrolled: 1-line block ×3, first 2 shown]
	v_lshlrev_b32_e32 v3, 1, v81
	global_wb scope:SCOPE_SE
	s_wait_dscnt 0x0
	s_barrier_signal -1
	s_barrier_wait -1
	global_inv scope:SCOPE_SE
	v_dual_sub_f32 v21, v5, v9 :: v_dual_lshlrev_b32 v28, 3, v3
	v_dual_sub_f32 v22, v6, v10 :: v_dual_sub_f32 v9, v7, v11
	v_dual_sub_f32 v10, v8, v12 :: v_dual_sub_f32 v25, v13, v17
	v_dual_sub_f32 v26, v14, v18 :: v_dual_sub_f32 v17, v15, v19
	v_sub_f32_e32 v18, v16, v20
	v_fma_f32 v19, v5, 2.0, -v21
	v_fma_f32 v20, v6, 2.0, -v22
	;; [unrolled: 1-line block ×8, first 2 shown]
	ds_store_b128 v84, v[19:22]
	ds_store_b128 v84, v[7:10] offset:2816
	ds_store_b128 v28, v[23:26] offset:5632
	;; [unrolled: 1-line block ×3, first 2 shown]
	global_wb scope:SCOPE_SE
	s_wait_dscnt 0x0
	s_barrier_signal -1
	s_barrier_wait -1
	global_inv scope:SCOPE_SE
	ds_load_2addr_b64 v[11:14], v2 offset0:32 offset1:208
	v_and_b32_e32 v27, 1, v81
	ds_load_2addr_b64 v[7:10], v4 offset0:64 offset1:240
	v_lshlrev_b32_e32 v6, 1, v72
	v_lshlrev_b32_e32 v29, 3, v27
	global_load_b64 v[57:58], v29, s[10:11]
	s_wait_loadcnt_dscnt 0x1
	v_mul_f32_e32 v32, v13, v58
	s_wait_dscnt 0x0
	v_mul_f32_e32 v28, v9, v58
	v_dual_mul_f32 v26, v7, v58 :: v_dual_add_nc_u32 v73, 0x2c0, v3
	v_mul_f32_e32 v30, v11, v58
	v_and_or_b32 v15, 0x1fc, v3, v27
	s_delay_alu instid0(VALU_DEP_4)
	v_fmac_f32_e32 v28, v10, v57
	v_add_nc_u32_e32 v71, 0x210, v81
	v_and_or_b32 v16, 0x3fc, v6, v27
	v_and_or_b32 v17, 0x7fc, v73, v27
	v_fmac_f32_e32 v30, v12, v57
	v_lshlrev_b32_e32 v88, 3, v15
	v_lshlrev_b32_e32 v5, 1, v71
	v_dual_fmac_f32 v32, v14, v57 :: v_dual_lshlrev_b32 v87, 3, v16
	v_dual_mul_f32 v25, v8, v58 :: v_dual_lshlrev_b32 v86, 3, v17
	s_delay_alu instid0(VALU_DEP_3)
	v_and_or_b32 v18, 0x7fc, v5, v27
	v_mul_f32_e32 v27, v10, v58
	v_mul_f32_e32 v29, v12, v58
	;; [unrolled: 1-line block ×3, first 2 shown]
	v_fma_f32 v7, v7, v57, -v25
	v_lshlrev_b32_e32 v85, 3, v18
	ds_load_2addr_b64 v[15:18], v82 offset1:176
	ds_load_2addr_b64 v[19:22], v1 offset0:32 offset1:208
	v_fmac_f32_e32 v26, v8, v57
	v_fma_f32 v9, v9, v57, -v27
	v_fma_f32 v11, v11, v57, -v29
	;; [unrolled: 1-line block ×3, first 2 shown]
	v_and_b32_e32 v23, 3, v81
	global_wb scope:SCOPE_SE
	s_wait_dscnt 0x0
	s_barrier_signal -1
	s_barrier_wait -1
	global_inv scope:SCOPE_SE
	v_dual_sub_f32 v7, v15, v7 :: v_dual_sub_f32 v8, v16, v26
	v_dual_sub_f32 v9, v17, v9 :: v_dual_sub_f32 v10, v18, v28
	;; [unrolled: 1-line block ×4, first 2 shown]
	v_lshlrev_b32_e32 v24, 3, v23
	v_fma_f32 v15, v15, 2.0, -v7
	v_fma_f32 v16, v16, 2.0, -v8
	;; [unrolled: 1-line block ×8, first 2 shown]
	ds_store_2addr_b64 v88, v[15:16], v[7:8] offset1:2
	ds_store_2addr_b64 v87, v[17:18], v[9:10] offset1:2
	;; [unrolled: 1-line block ×4, first 2 shown]
	global_wb scope:SCOPE_SE
	s_wait_dscnt 0x0
	s_barrier_signal -1
	s_barrier_wait -1
	global_inv scope:SCOPE_SE
	global_load_b64 v[59:60], v24, s[10:11] offset:16
	ds_load_2addr_b64 v[7:10], v4 offset0:64 offset1:240
	ds_load_2addr_b64 v[11:14], v2 offset0:32 offset1:208
	v_and_or_b32 v15, 0x1f8, v3, v23
	v_and_or_b32 v16, 0x3f8, v6, v23
	;; [unrolled: 1-line block ×4, first 2 shown]
	v_and_b32_e32 v24, 7, v81
	s_delay_alu instid0(VALU_DEP_4) | instskip(NEXT) | instid1(VALU_DEP_3)
	v_lshlrev_b32_e32 v92, 3, v16
	v_lshlrev_b32_e32 v90, 3, v18
	s_wait_loadcnt_dscnt 0x1
	v_mul_f32_e32 v26, v7, v60
	s_wait_dscnt 0x0
	v_dual_mul_f32 v30, v11, v60 :: v_dual_lshlrev_b32 v91, 3, v17
	v_mul_f32_e32 v32, v13, v60
	v_mul_f32_e32 v25, v8, v60
	v_fmac_f32_e32 v26, v8, v59
	v_lshlrev_b32_e32 v93, 3, v15
	ds_load_2addr_b64 v[15:18], v82 offset1:176
	ds_load_2addr_b64 v[19:22], v1 offset0:32 offset1:208
	v_mul_f32_e32 v28, v9, v60
	v_dual_fmac_f32 v30, v12, v59 :: v_dual_mul_f32 v27, v10, v60
	v_mul_f32_e32 v29, v12, v60
	v_mul_f32_e32 v31, v14, v60
	v_fmac_f32_e32 v32, v14, v59
	v_fma_f32 v7, v7, v59, -v25
	v_dual_fmac_f32 v28, v10, v59 :: v_dual_lshlrev_b32 v23, 3, v24
	v_fma_f32 v11, v11, v59, -v29
	v_fma_f32 v13, v13, v59, -v31
	global_wb scope:SCOPE_SE
	s_wait_dscnt 0x0
	s_barrier_signal -1
	s_barrier_wait -1
	global_inv scope:SCOPE_SE
	v_dual_sub_f32 v7, v15, v7 :: v_dual_sub_f32 v10, v18, v28
	v_sub_f32_e32 v12, v20, v30
	v_fma_f32 v9, v9, v59, -v27
	v_dual_sub_f32 v8, v16, v26 :: v_dual_sub_f32 v11, v19, v11
	v_dual_sub_f32 v13, v21, v13 :: v_dual_sub_f32 v14, v22, v32
	s_delay_alu instid0(VALU_DEP_3) | instskip(SKIP_1) | instid1(VALU_DEP_4)
	v_sub_f32_e32 v9, v17, v9
	v_fma_f32 v15, v15, 2.0, -v7
	v_fma_f32 v16, v16, 2.0, -v8
	;; [unrolled: 1-line block ×8, first 2 shown]
	ds_store_2addr_b64 v93, v[15:16], v[7:8] offset1:4
	ds_store_2addr_b64 v92, v[17:18], v[9:10] offset1:4
	;; [unrolled: 1-line block ×4, first 2 shown]
	global_wb scope:SCOPE_SE
	s_wait_dscnt 0x0
	s_barrier_signal -1
	s_barrier_wait -1
	global_inv scope:SCOPE_SE
	global_load_b64 v[61:62], v23, s[10:11] offset:48
	ds_load_2addr_b64 v[7:10], v4 offset0:64 offset1:240
	ds_load_2addr_b64 v[11:14], v2 offset0:32 offset1:208
	v_and_or_b32 v15, 0x1f0, v3, v24
	v_and_or_b32 v16, 0x3f0, v6, v24
	v_and_or_b32 v17, 0x7f0, v73, v24
	v_and_or_b32 v18, 0x7f0, v5, v24
	v_and_b32_e32 v23, 15, v81
	v_lshlrev_b32_e32 v97, 3, v15
	v_lshlrev_b32_e32 v96, 3, v16
	;; [unrolled: 1-line block ×4, first 2 shown]
	ds_load_2addr_b64 v[15:18], v82 offset1:176
	ds_load_2addr_b64 v[19:22], v1 offset0:32 offset1:208
	global_wb scope:SCOPE_SE
	s_wait_loadcnt_dscnt 0x0
	s_barrier_signal -1
	s_barrier_wait -1
	global_inv scope:SCOPE_SE
	v_mul_f32_e32 v32, v13, v62
	v_mul_f32_e32 v26, v7, v62
	;; [unrolled: 1-line block ×5, first 2 shown]
	v_dual_mul_f32 v29, v12, v62 :: v_dual_fmac_f32 v32, v14, v61
	v_mul_f32_e32 v30, v11, v62
	v_dual_mul_f32 v31, v14, v62 :: v_dual_fmac_f32 v26, v8, v61
	v_fmac_f32_e32 v28, v10, v61
	v_fma_f32 v7, v7, v61, -v25
	s_delay_alu instid0(VALU_DEP_4) | instskip(SKIP_4) | instid1(VALU_DEP_4)
	v_fmac_f32_e32 v30, v12, v61
	v_fma_f32 v9, v9, v61, -v27
	v_fma_f32 v11, v11, v61, -v29
	;; [unrolled: 1-line block ×3, first 2 shown]
	v_dual_sub_f32 v7, v15, v7 :: v_dual_sub_f32 v8, v16, v26
	v_dual_sub_f32 v9, v17, v9 :: v_dual_sub_f32 v10, v18, v28
	s_delay_alu instid0(VALU_DEP_4) | instskip(NEXT) | instid1(VALU_DEP_4)
	v_dual_sub_f32 v11, v19, v11 :: v_dual_sub_f32 v12, v20, v30
	v_dual_sub_f32 v13, v21, v13 :: v_dual_sub_f32 v14, v22, v32
	v_lshlrev_b32_e32 v24, 3, v23
	v_fma_f32 v15, v15, 2.0, -v7
	v_fma_f32 v16, v16, 2.0, -v8
	;; [unrolled: 1-line block ×8, first 2 shown]
	ds_store_2addr_b64 v97, v[15:16], v[7:8] offset1:8
	ds_store_2addr_b64 v96, v[17:18], v[9:10] offset1:8
	;; [unrolled: 1-line block ×4, first 2 shown]
	global_wb scope:SCOPE_SE
	s_wait_dscnt 0x0
	s_barrier_signal -1
	s_barrier_wait -1
	global_inv scope:SCOPE_SE
	global_load_b64 v[63:64], v24, s[10:11] offset:112
	ds_load_2addr_b64 v[7:10], v4 offset0:64 offset1:240
	ds_load_2addr_b64 v[11:14], v2 offset0:32 offset1:208
	v_and_or_b32 v15, 0x1e0, v3, v23
	v_and_or_b32 v16, 0x3e0, v6, v23
	;; [unrolled: 1-line block ×4, first 2 shown]
	v_and_b32_e32 v27, 31, v71
	v_lshlrev_b32_e32 v103, 3, v15
	v_and_b32_e32 v24, 31, v81
	v_lshlrev_b32_e32 v101, 3, v17
	s_wait_loadcnt_dscnt 0x1
	v_dual_mul_f32 v31, v9, v64 :: v_dual_lshlrev_b32 v100, 3, v18
	v_lshlrev_b32_e32 v102, 3, v16
	ds_load_2addr_b64 v[15:18], v82 offset1:176
	ds_load_2addr_b64 v[19:22], v1 offset0:32 offset1:208
	v_mul_f32_e32 v28, v8, v64
	v_mul_f32_e32 v29, v7, v64
	v_fmac_f32_e32 v31, v10, v63
	s_wait_dscnt 0x2
	v_mul_f32_e32 v33, v11, v64
	v_dual_mul_f32 v30, v10, v64 :: v_dual_lshlrev_b32 v23, 3, v27
	v_mul_f32_e32 v32, v12, v64
	v_mul_f32_e32 v34, v14, v64
	v_dual_fmac_f32 v29, v8, v63 :: v_dual_and_b32 v26, 31, v72
	v_fma_f32 v7, v7, v63, -v28
	v_fma_f32 v9, v9, v63, -v30
	;; [unrolled: 1-line block ×3, first 2 shown]
	v_lshlrev_b32_e32 v25, 3, v24
	v_and_or_b32 v0, 0x1c0, v3, v24
	v_and_or_b32 v3, 0x3c0, v6, v26
	global_wb scope:SCOPE_SE
	s_wait_dscnt 0x0
	s_barrier_signal -1
	v_sub_f32_e32 v8, v16, v29
	v_sub_f32_e32 v10, v18, v31
	v_fmac_f32_e32 v33, v12, v63
	v_mul_f32_e32 v35, v13, v64
	v_fma_f32 v13, v13, v63, -v34
	v_sub_f32_e32 v7, v15, v7
	s_delay_alu instid0(VALU_DEP_4) | instskip(NEXT) | instid1(VALU_DEP_4)
	v_dual_sub_f32 v11, v19, v11 :: v_dual_sub_f32 v12, v20, v33
	v_fmac_f32_e32 v35, v14, v63
	v_sub_f32_e32 v9, v17, v9
	v_dual_sub_f32 v13, v21, v13 :: v_dual_lshlrev_b32 v106, 3, v3
	v_fma_f32 v15, v15, 2.0, -v7
	s_delay_alu instid0(VALU_DEP_4)
	v_sub_f32_e32 v14, v22, v35
	v_fma_f32 v16, v16, 2.0, -v8
	v_fma_f32 v17, v17, 2.0, -v9
	;; [unrolled: 1-line block ×7, first 2 shown]
	s_barrier_wait -1
	global_inv scope:SCOPE_SE
	ds_store_2addr_b64 v103, v[15:16], v[7:8] offset1:16
	ds_store_2addr_b64 v102, v[17:18], v[9:10] offset1:16
	;; [unrolled: 1-line block ×4, first 2 shown]
	v_lshlrev_b32_e32 v7, 3, v26
	global_wb scope:SCOPE_SE
	s_wait_dscnt 0x0
	s_barrier_signal -1
	s_barrier_wait -1
	global_inv scope:SCOPE_SE
	s_clause 0x3
	global_load_b64 v[67:68], v25, s[10:11] offset:240
	global_load_b64 v[65:66], v23, s[10:11] offset:240
	global_load_b32 v99, v23, s[10:11] offset:244
	global_load_b32 v98, v7, s[10:11] offset:240
	ds_load_2addr_b64 v[11:14], v2 offset0:32 offset1:208
	ds_load_2addr_b64 v[7:10], v4 offset0:64 offset1:240
	v_and_or_b32 v2, 0x7c0, v73, v24
	v_and_or_b32 v4, 0x7c0, v5, v27
	v_lshlrev_b32_e32 v107, 3, v0
	s_delay_alu instid0(VALU_DEP_2)
	v_lshlrev_b32_e32 v104, 3, v4
	s_wait_loadcnt_dscnt 0x300
	v_mul_f32_e32 v0, v8, v68
	s_wait_loadcnt 0x1
	v_dual_mul_f32 v24, v13, v99 :: v_dual_lshlrev_b32 v105, 3, v2
	ds_load_2addr_b64 v[2:5], v82 offset1:176
	ds_load_2addr_b64 v[15:18], v1 offset0:32 offset1:208
	v_mul_f32_e32 v6, v10, v66
	v_mul_f32_e32 v20, v12, v68
	v_dual_fmac_f32 v24, v14, v65 :: v_dual_mul_f32 v21, v11, v68
	v_mul_f32_e32 v22, v14, v99
	v_fma_f32 v0, v7, v67, -v0
	v_mul_f32_e32 v19, v9, v66
	s_wait_loadcnt 0x0
	v_fma_f32 v6, v9, v98, -v6
	v_mul_f32_e32 v1, v7, v68
	v_fma_f32 v7, v11, v67, -v20
	v_fmac_f32_e32 v21, v12, v67
	global_wb scope:SCOPE_SE
	s_wait_dscnt 0x0
	s_barrier_signal -1
	v_fmac_f32_e32 v1, v8, v67
	v_fma_f32 v8, v13, v65, -v22
	s_barrier_wait -1
	global_inv scope:SCOPE_SE
	v_sub_f32_e32 v26, v2, v0
	v_dual_sub_f32 v34, v17, v8 :: v_dual_fmac_f32 v19, v10, v98
	v_sub_f32_e32 v30, v15, v7
	v_dual_sub_f32 v27, v3, v1 :: v_dual_sub_f32 v22, v4, v6
	v_sub_f32_e32 v31, v16, v21
	s_delay_alu instid0(VALU_DEP_4)
	v_sub_f32_e32 v23, v5, v19
	v_sub_f32_e32 v35, v18, v24
	v_fma_f32 v24, v2, 2.0, -v26
	v_fma_f32 v25, v3, 2.0, -v27
	;; [unrolled: 1-line block ×8, first 2 shown]
	ds_store_2addr_b64 v107, v[24:25], v[26:27] offset1:32
	ds_store_2addr_b64 v106, v[20:21], v[22:23] offset1:32
	;; [unrolled: 1-line block ×4, first 2 shown]
	global_wb scope:SCOPE_SE
	s_wait_dscnt 0x0
	s_barrier_signal -1
	s_barrier_wait -1
	global_inv scope:SCOPE_SE
	s_and_saveexec_b32 s2, vcc_lo
	s_cbranch_execz .LBB0_3
; %bb.2:
	ds_load_2addr_stride64_b64 v[24:27], v82 offset1:2
	ds_load_2addr_stride64_b64 v[20:23], v82 offset0:4 offset1:6
	ds_load_2addr_stride64_b64 v[28:31], v82 offset0:8 offset1:10
	;; [unrolled: 1-line block ×4, first 2 shown]
	ds_load_b64 v[69:70], v82 offset:10240
.LBB0_3:
	s_wait_alu 0xfffe
	s_or_b32 exec_lo, exec_lo, s2
	v_and_b32_e32 v83, 63, v81
	s_delay_alu instid0(VALU_DEP_1)
	v_mad_co_u64_u32 v[16:17], null, 0x50, v83, s[10:11]
	s_clause 0x4
	global_load_b128 v[12:15], v[16:17], off offset:496
	global_load_b128 v[4:7], v[16:17], off offset:512
	;; [unrolled: 1-line block ×5, first 2 shown]
	v_lshlrev_b32_e32 v109, 3, v73
	v_lshlrev_b32_e32 v110, 4, v72
	;; [unrolled: 1-line block ×3, first 2 shown]
	global_wb scope:SCOPE_SE
	s_wait_loadcnt_dscnt 0x0
	s_barrier_signal -1
	s_barrier_wait -1
	global_inv scope:SCOPE_SE
	v_dual_mul_f32 v74, v27, v13 :: v_dual_mul_f32 v89, v29, v7
	v_dual_mul_f32 v78, v23, v5 :: v_dual_mul_f32 v123, v37, v11
	;; [unrolled: 1-line block ×6, first 2 shown]
	v_mul_f32_e32 v77, v21, v15
	v_mul_f32_e32 v118, v20, v15
	;; [unrolled: 1-line block ×3, first 2 shown]
	v_dual_mul_f32 v124, v39, v17 :: v_dual_mul_f32 v71, v69, v19
	v_dual_mul_f32 v72, v38, v17 :: v_dual_fmac_f32 v111, v31, v0
	v_fma_f32 v119, v26, v12, -v74
	v_fma_f32 v115, v22, v4, -v78
	s_delay_alu instid0(VALU_DEP_4)
	v_dual_fmac_f32 v116, v23, v4 :: v_dual_fmac_f32 v71, v70, v18
	v_fma_f32 v114, v28, v6, -v89
	v_fma_f32 v28, v36, v10, -v123
	;; [unrolled: 1-line block ×3, first 2 shown]
	v_dual_fmac_f32 v73, v37, v10 :: v_dual_fmac_f32 v72, v39, v16
	v_dual_mul_f32 v75, v34, v9 :: v_dual_fmac_f32 v120, v27, v12
	v_fma_f32 v117, v20, v14, -v77
	v_fmac_f32_e32 v118, v21, v14
	v_fma_f32 v27, v38, v16, -v124
	s_delay_alu instid0(VALU_DEP_4)
	v_fmac_f32_e32 v75, v35, v8
	v_sub_f32_e32 v158, v119, v26
	v_dual_add_f32 v36, v116, v73 :: v_dual_sub_f32 v153, v115, v28
	v_dual_mul_f32 v113, v31, v1 :: v_dual_fmac_f32 v112, v29, v6
	v_dual_add_f32 v39, v120, v71 :: v_dual_fmac_f32 v76, v33, v2
	v_sub_f32_e32 v149, v118, v72
	v_dual_add_f32 v37, v119, v26 :: v_dual_sub_f32 v150, v120, v71
	v_add_f32_e32 v35, v117, v27
	v_dual_sub_f32 v156, v117, v27 :: v_dual_add_f32 v33, v115, v28
	v_dual_mul_f32 v124, 0xbf7d64f0, v153 :: v_dual_mul_f32 v157, 0xbf7d64f0, v158
	v_fma_f32 v113, v30, v0, -v113
	v_fma_f32 v74, v32, v2, -v121
	v_fma_f32 v30, v34, v8, -v122
	v_add_f32_e32 v38, v118, v72
	v_dual_sub_f32 v148, v116, v73 :: v_dual_sub_f32 v143, v111, v76
	v_mul_f32_e32 v126, 0xbf0a6770, v150
	v_dual_mul_f32 v142, 0x3e903f40, v149 :: v_dual_mul_f32 v155, 0x3e903f40, v156
	v_fma_f32 v177, 0xbe11bafb, v39, -v157
	v_dual_add_f32 v31, v114, v30 :: v_dual_sub_f32 v144, v112, v75
	v_sub_f32_e32 v145, v113, v74
	v_add_f32_e32 v29, v113, v74
	v_dual_mul_f32 v140, 0xbf68dda4, v158 :: v_dual_mul_f32 v125, 0xbf68dda4, v149
	v_dual_mul_f32 v122, 0xbf7d64f0, v148 :: v_dual_mul_f32 v147, 0xbf7d64f0, v150
	;; [unrolled: 1-line block ×3, first 2 shown]
	v_dual_mul_f32 v136, 0xbf4178ce, v143 :: v_dual_add_f32 v177, v25, v177
	v_fma_f32 v178, 0xbf75a155, v38, -v155
	v_fmamk_f32 v20, v37, 0x3f575c64, v126
	v_dual_mul_f32 v133, 0xbf68dda4, v150 :: v_dual_add_f32 v32, v111, v76
	v_mul_f32_e32 v129, 0xbf0a6770, v158
	v_dual_mul_f32 v132, 0xbf4178ce, v149 :: v_dual_mul_f32 v139, 0xbf4178ce, v156
	v_fma_f32 v159, 0x3ed4b147, v39, -v140
	v_mul_f32_e32 v134, 0x3f0a6770, v145
	v_fmamk_f32 v172, v37, 0xbe11bafb, v147
	v_fma_f32 v179, 0x3ed4b147, v36, -v154
	v_dual_add_f32 v20, v24, v20 :: v_dual_fmamk_f32 v77, v37, 0x3ed4b147, v133
	s_delay_alu instid0(VALU_DEP_3) | instskip(SKIP_2) | instid1(VALU_DEP_4)
	v_dual_mul_f32 v69, 0xbe903f40, v143 :: v_dual_add_f32 v172, v24, v172
	v_mul_f32_e32 v138, 0xbf0a6770, v144
	v_fma_f32 v21, 0x3f575c64, v39, -v129
	v_add_f32_e32 v77, v24, v77
	v_fmamk_f32 v173, v35, 0xbf75a155, v142
	v_dual_fmamk_f32 v22, v35, 0x3ed4b147, v125 :: v_dual_add_f32 v159, v25, v159
	v_fma_f32 v171, 0x3f575c64, v32, -v134
	v_fmamk_f32 v174, v33, 0x3ed4b147, v141
	v_fmamk_f32 v162, v35, 0xbf27a4f4, v132
	v_dual_mul_f32 v127, 0xbf68dda4, v156 :: v_dual_add_f32 v34, v112, v75
	v_dual_sub_f32 v151, v114, v30 :: v_dual_mul_f32 v130, 0x3e903f40, v148
	v_mul_f32_e32 v137, 0x3e903f40, v153
	v_dual_mul_f32 v121, 0xbe903f40, v145 :: v_dual_add_f32 v20, v22, v20
	v_dual_mul_f32 v128, 0x3f0a6770, v143 :: v_dual_add_f32 v21, v25, v21
	v_fma_f32 v165, 0xbf27a4f4, v38, -v139
	v_add_f32_e32 v22, v162, v77
	v_fma_f32 v23, 0x3ed4b147, v38, -v127
	v_mul_f32_e32 v152, 0xbf0a6770, v151
	v_mul_f32_e32 v146, 0xbf4178ce, v145
	v_fma_f32 v167, 0xbf75a155, v36, -v137
	v_add_f32_e32 v77, v173, v172
	v_add_f32_e32 v21, v23, v21
	;; [unrolled: 1-line block ×3, first 2 shown]
	v_dual_fmamk_f32 v78, v33, 0xbe11bafb, v122 :: v_dual_add_f32 v159, v178, v177
	v_fma_f32 v180, 0x3f575c64, v34, -v152
	v_dual_mul_f32 v70, 0xbf4178ce, v144 :: v_dual_mul_f32 v123, 0xbf4178ce, v151
	s_delay_alu instid0(VALU_DEP_4) | instskip(NEXT) | instid1(VALU_DEP_4)
	v_add_f32_e32 v23, v167, v23
	v_dual_mul_f32 v135, 0x3f7d64f0, v151 :: v_dual_add_f32 v20, v78, v20
	v_add_f32_e32 v78, v179, v159
	v_fmamk_f32 v170, v29, 0x3f575c64, v128
	v_fma_f32 v89, 0xbe11bafb, v36, -v124
	s_delay_alu instid0(VALU_DEP_4)
	v_fma_f32 v169, 0xbe11bafb, v34, -v135
	v_fma_f32 v164, 0xbf75a155, v32, -v121
	v_add_f32_e32 v159, v180, v78
	v_fmamk_f32 v175, v31, 0x3f575c64, v138
	v_dual_fmamk_f32 v160, v31, 0xbf27a4f4, v70 :: v_dual_add_f32 v21, v89, v21
	v_add_f32_e32 v23, v169, v23
	v_fma_f32 v161, 0xbf27a4f4, v34, -v123
	s_delay_alu instid0(VALU_DEP_3) | instskip(NEXT) | instid1(VALU_DEP_3)
	v_dual_fmamk_f32 v163, v29, 0xbf75a155, v69 :: v_dual_add_f32 v20, v160, v20
	v_dual_fmamk_f32 v176, v29, 0xbf27a4f4, v136 :: v_dual_add_f32 v23, v171, v23
	v_dual_add_f32 v77, v174, v77 :: v_dual_fmamk_f32 v166, v33, 0xbf75a155, v130
	v_fma_f32 v181, 0xbf27a4f4, v32, -v146
	v_add_f32_e32 v21, v161, v21
	s_delay_alu instid0(VALU_DEP_3) | instskip(NEXT) | instid1(VALU_DEP_4)
	v_add_f32_e32 v89, v175, v77
	v_dual_mul_f32 v131, 0x3f7d64f0, v144 :: v_dual_add_f32 v22, v166, v22
	s_delay_alu instid0(VALU_DEP_3) | instskip(NEXT) | instid1(VALU_DEP_3)
	v_dual_add_f32 v77, v163, v20 :: v_dual_add_f32 v78, v164, v21
	v_dual_add_f32 v20, v176, v89 :: v_dual_add_f32 v21, v181, v159
	s_delay_alu instid0(VALU_DEP_3) | instskip(SKIP_1) | instid1(VALU_DEP_2)
	v_fmamk_f32 v168, v31, 0xbe11bafb, v131
	v_lshrrev_b32_e32 v89, 6, v81
	v_add_f32_e32 v22, v168, v22
	s_delay_alu instid0(VALU_DEP_1)
	v_add_f32_e32 v22, v170, v22
	s_and_saveexec_b32 s2, vcc_lo
	s_cbranch_execz .LBB0_5
; %bb.4:
	v_dual_mul_f32 v159, 0xbf75a155, v39 :: v_dual_mul_f32 v186, 0xbf75a155, v29
	v_dual_mul_f32 v161, 0x3f575c64, v38 :: v_dual_mul_f32 v188, 0x3f575c64, v29
	v_mul_f32_e32 v200, 0xbf4178ce, v148
	s_delay_alu instid0(VALU_DEP_3)
	v_fmamk_f32 v160, v158, 0x3e903f40, v159
	v_fmac_f32_e32 v159, 0xbe903f40, v158
	v_mul_f32_e32 v190, 0xbf27a4f4, v36
	v_mul_f32_e32 v194, 0x3ed4b147, v34
	v_dual_mul_f32 v166, 0xbe11bafb, v37 :: v_dual_mul_f32 v167, 0xbe11bafb, v39
	v_fmamk_f32 v189, v156, 0xbf0a6770, v161
	v_add_f32_e32 v201, v25, v159
	v_dual_add_f32 v160, v25, v160 :: v_dual_mul_f32 v193, 0xbe903f40, v150
	v_fmac_f32_e32 v161, 0x3f0a6770, v156
	v_mul_f32_e32 v198, 0xbe11bafb, v32
	v_dual_mul_f32 v172, 0xbf75a155, v35 :: v_dual_mul_f32 v173, 0xbf75a155, v38
	s_delay_alu instid0(VALU_DEP_4)
	v_add_f32_e32 v160, v189, v160
	v_dual_mul_f32 v187, 0xbf75a155, v32 :: v_dual_fmamk_f32 v196, v37, 0xbf75a155, v193
	v_mul_f32_e32 v197, 0x3f0a6770, v149
	v_add_f32_e32 v161, v161, v201
	v_mul_f32_e32 v149, 0x3f7d64f0, v149
	v_dual_mul_f32 v148, 0xbf0a6770, v148 :: v_dual_add_f32 v155, v155, v173
	s_delay_alu instid0(VALU_DEP_4) | instskip(SKIP_2) | instid1(VALU_DEP_3)
	v_dual_add_f32 v196, v24, v196 :: v_dual_fmamk_f32 v199, v35, 0x3f575c64, v197
	v_dual_mul_f32 v178, 0x3ed4b147, v33 :: v_dual_mul_f32 v179, 0x3ed4b147, v36
	v_dual_mul_f32 v184, 0x3f575c64, v31 :: v_dual_mul_f32 v185, 0x3f575c64, v34
	v_dual_add_f32 v196, v199, v196 :: v_dual_fmamk_f32 v199, v33, 0xbf27a4f4, v200
	v_fmamk_f32 v189, v153, 0x3f4178ce, v190
	v_dual_mul_f32 v156, 0x3f7d64f0, v156 :: v_dual_add_f32 v157, v157, v167
	v_dual_mul_f32 v164, 0x3ed4b147, v37 :: v_dual_mul_f32 v165, 0x3ed4b147, v39
	s_delay_alu instid0(VALU_DEP_3) | instskip(SKIP_3) | instid1(VALU_DEP_4)
	v_dual_add_f32 v160, v189, v160 :: v_dual_fmamk_f32 v189, v151, 0xbf68dda4, v194
	v_fmac_f32_e32 v190, 0xbf4178ce, v153
	v_fma_f32 v197, 0x3f575c64, v35, -v197
	v_dual_mul_f32 v192, 0xbf27a4f4, v29 :: v_dual_mul_f32 v195, 0xbf27a4f4, v32
	v_add_f32_e32 v160, v189, v160
	v_fmamk_f32 v189, v145, 0x3f7d64f0, v198
	v_add_f32_e32 v161, v190, v161
	v_fmac_f32_e32 v198, 0xbf7d64f0, v145
	v_mul_f32_e32 v145, 0x3f68dda4, v145
	v_dual_mul_f32 v170, 0xbf27a4f4, v35 :: v_dual_mul_f32 v171, 0xbf27a4f4, v38
	v_add_f32_e32 v159, v189, v160
	v_mul_f32_e32 v160, 0x3f68dda4, v144
	v_fma_f32 v189, 0xbf75a155, v37, -v193
	v_add_f32_e32 v193, v199, v196
	v_mul_f32_e32 v199, 0xbf7d64f0, v143
	v_dual_sub_f32 v133, v164, v133 :: v_dual_sub_f32 v132, v170, v132
	s_delay_alu instid0(VALU_DEP_4) | instskip(SKIP_2) | instid1(VALU_DEP_3)
	v_dual_add_f32 v189, v24, v189 :: v_dual_fmamk_f32 v196, v31, 0x3ed4b147, v160
	v_fma_f32 v160, 0x3ed4b147, v31, -v160
	v_dual_mul_f32 v176, 0xbf75a155, v33 :: v_dual_mul_f32 v177, 0xbf75a155, v36
	v_add_f32_e32 v189, v197, v189
	s_delay_alu instid0(VALU_DEP_4) | instskip(SKIP_4) | instid1(VALU_DEP_4)
	v_dual_mul_f32 v191, 0x3f575c64, v32 :: v_dual_add_f32 v190, v196, v193
	v_fma_f32 v193, 0xbf27a4f4, v33, -v200
	v_fmac_f32_e32 v194, 0x3f68dda4, v151
	v_mul_f32_e32 v151, 0xbe903f40, v151
	v_dual_sub_f32 v141, v178, v141 :: v_dual_sub_f32 v138, v184, v138
	v_add_f32_e32 v189, v193, v189
	s_delay_alu instid0(VALU_DEP_4) | instskip(SKIP_2) | instid1(VALU_DEP_4)
	v_dual_fmamk_f32 v196, v29, 0xbe11bafb, v199 :: v_dual_add_f32 v161, v194, v161
	v_mul_f32_e32 v194, 0xbf4178ce, v158
	v_add_f32_e32 v152, v152, v185
	v_add_f32_e32 v160, v160, v189
	s_delay_alu instid0(VALU_DEP_4) | instskip(SKIP_4) | instid1(VALU_DEP_4)
	v_dual_add_f32 v158, v196, v190 :: v_dual_add_f32 v161, v198, v161
	v_fma_f32 v189, 0xbe11bafb, v29, -v199
	v_fma_f32 v196, 0xbe11bafb, v35, -v149
	v_mul_f32_e32 v150, 0xbf4178ce, v150
	v_dual_fmamk_f32 v193, v38, 0xbe11bafb, v156 :: v_dual_add_f32 v140, v140, v165
	v_add_f32_e32 v160, v189, v160
	v_add_f32_e32 v146, v146, v195
	s_delay_alu instid0(VALU_DEP_4) | instskip(SKIP_4) | instid1(VALU_DEP_4)
	v_fma_f32 v189, 0xbf27a4f4, v37, -v150
	v_fmamk_f32 v190, v39, 0xbf27a4f4, v194
	v_add_f32_e32 v140, v25, v140
	v_sub_f32_e32 v142, v172, v142
	v_dual_add_f32 v133, v24, v133 :: v_dual_add_f32 v134, v134, v191
	v_dual_add_f32 v189, v24, v189 :: v_dual_add_f32 v190, v25, v190
	v_mul_f32_e32 v153, 0xbf0a6770, v153
	v_dual_add_f32 v137, v137, v177 :: v_dual_sub_f32 v130, v176, v130
	s_delay_alu instid0(VALU_DEP_3) | instskip(NEXT) | instid1(VALU_DEP_3)
	v_dual_add_f32 v189, v196, v189 :: v_dual_add_f32 v190, v193, v190
	v_fmamk_f32 v193, v36, 0x3f575c64, v153
	v_mul_f32_e32 v196, 0xbe903f40, v144
	v_dual_add_f32 v144, v25, v157 :: v_dual_fmamk_f32 v167, v34, 0xbf75a155, v151
	v_dual_mul_f32 v162, 0x3f575c64, v37 :: v_dual_mul_f32 v163, 0x3f575c64, v39
	s_delay_alu instid0(VALU_DEP_4) | instskip(SKIP_4) | instid1(VALU_DEP_4)
	v_add_f32_e32 v190, v193, v190
	v_fma_f32 v193, 0x3f575c64, v33, -v148
	v_fma_f32 v173, 0xbf75a155, v31, -v196
	v_add_f32_e32 v132, v132, v133
	v_dual_mul_f32 v182, 0xbe11bafb, v31 :: v_dual_mul_f32 v183, 0xbe11bafb, v34
	v_add_f32_e32 v157, v193, v189
	v_mul_f32_e32 v189, 0x3f68dda4, v143
	v_dual_add_f32 v143, v155, v144 :: v_dual_add_f32 v144, v154, v179
	s_delay_alu instid0(VALU_DEP_3) | instskip(SKIP_2) | instid1(VALU_DEP_4)
	v_dual_add_f32 v154, v167, v190 :: v_dual_add_f32 v157, v173, v157
	v_dual_fmamk_f32 v155, v32, 0x3ed4b147, v145 :: v_dual_add_f32 v130, v130, v132
	v_add_f32_e32 v129, v129, v163
	v_add_f32_e32 v173, v144, v143
	s_delay_alu instid0(VALU_DEP_3) | instskip(SKIP_2) | instid1(VALU_DEP_4)
	v_dual_sub_f32 v147, v166, v147 :: v_dual_add_f32 v144, v155, v154
	v_fma_f32 v167, 0x3ed4b147, v29, -v189
	v_add_f32_e32 v132, v25, v120
	v_add_f32_e32 v152, v152, v173
	;; [unrolled: 1-line block ×3, first 2 shown]
	v_dual_add_f32 v135, v135, v183 :: v_dual_sub_f32 v136, v192, v136
	s_delay_alu instid0(VALU_DEP_4) | instskip(NEXT) | instid1(VALU_DEP_4)
	v_dual_sub_f32 v131, v182, v131 :: v_dual_add_f32 v118, v132, v118
	v_add_f32_e32 v139, v146, v152
	s_delay_alu instid0(VALU_DEP_4) | instskip(SKIP_1) | instid1(VALU_DEP_2)
	v_dual_add_f32 v147, v24, v147 :: v_dual_add_f32 v140, v154, v140
	v_dual_add_f32 v143, v167, v157 :: v_dual_mul_f32 v168, 0x3ed4b147, v35
	v_dual_mul_f32 v169, 0x3ed4b147, v38 :: v_dual_add_f32 v142, v142, v147
	v_sub_f32_e32 v126, v162, v126
	v_dual_add_f32 v116, v118, v116 :: v_dual_add_f32 v119, v24, v119
	v_dual_mul_f32 v174, 0xbe11bafb, v33 :: v_dual_mul_f32 v175, 0xbe11bafb, v36
	s_delay_alu instid0(VALU_DEP_4) | instskip(SKIP_3) | instid1(VALU_DEP_4)
	v_add_f32_e32 v141, v141, v142
	v_add_f32_e32 v129, v25, v129
	v_dual_add_f32 v127, v127, v169 :: v_dual_sub_f32 v128, v188, v128
	v_dual_add_f32 v126, v24, v126 :: v_dual_add_f32 v117, v119, v117
	v_add_f32_e32 v133, v138, v141
	v_add_f32_e32 v137, v137, v140
	;; [unrolled: 1-line block ×3, first 2 shown]
	v_dual_mul_f32 v180, 0xbf27a4f4, v31 :: v_dual_mul_f32 v181, 0xbf27a4f4, v34
	s_delay_alu instid0(VALU_DEP_4) | instskip(NEXT) | instid1(VALU_DEP_4)
	v_add_f32_e32 v138, v136, v133
	v_add_f32_e32 v135, v135, v137
	v_dual_add_f32 v130, v131, v130 :: v_dual_sub_f32 v125, v168, v125
	v_add_f32_e32 v118, v127, v129
	v_dual_add_f32 v124, v124, v175 :: v_dual_add_f32 v119, v123, v181
	s_delay_alu instid0(VALU_DEP_4)
	v_add_f32_e32 v120, v134, v135
	v_dual_add_f32 v115, v117, v115 :: v_dual_sub_f32 v116, v174, v122
	v_add_f32_e32 v111, v112, v111
	v_add_f32_e32 v125, v125, v126
	;; [unrolled: 1-line block ×3, first 2 shown]
	v_dual_sub_f32 v70, v180, v70 :: v_dual_sub_f32 v69, v186, v69
	s_delay_alu instid0(VALU_DEP_4) | instskip(SKIP_3) | instid1(VALU_DEP_4)
	v_dual_add_f32 v76, v111, v76 :: v_dual_fmac_f32 v149, 0xbe11bafb, v35
	v_add_f32_e32 v111, v121, v187
	v_fma_f32 v39, 0xbf27a4f4, v39, -v194
	v_add_f32_e32 v112, v116, v125
	v_dual_add_f32 v116, v119, v118 :: v_dual_add_f32 v75, v76, v75
	v_fma_f32 v38, 0xbe11bafb, v38, -v156
	s_delay_alu instid0(VALU_DEP_3) | instskip(SKIP_1) | instid1(VALU_DEP_4)
	v_dual_add_f32 v25, v25, v39 :: v_dual_add_f32 v112, v70, v112
	v_fma_f32 v36, 0x3f575c64, v36, -v153
	v_add_f32_e32 v73, v75, v73
	s_delay_alu instid0(VALU_DEP_3) | instskip(NEXT) | instid1(VALU_DEP_4)
	v_dual_add_f32 v114, v115, v114 :: v_dual_add_f32 v35, v38, v25
	v_dual_add_f32 v69, v69, v112 :: v_dual_fmac_f32 v148, 0x3f575c64, v33
	s_delay_alu instid0(VALU_DEP_2) | instskip(SKIP_3) | instid1(VALU_DEP_4)
	v_dual_add_f32 v39, v73, v72 :: v_dual_add_f32 v76, v114, v113
	v_add_f32_e32 v70, v111, v116
	v_fmac_f32_e32 v150, 0xbf27a4f4, v37
	v_fma_f32 v33, 0xbf75a155, v34, -v151
	v_add_f32_e32 v25, v39, v71
	v_add_f32_e32 v37, v76, v74
	v_mul_u32_u24_e32 v34, 0x2c0, v89
	v_dual_add_f32 v24, v24, v150 :: v_dual_fmac_f32 v189, 0x3ed4b147, v29
	v_fmac_f32_e32 v196, 0xbf75a155, v31
	s_delay_alu instid0(VALU_DEP_4) | instskip(SKIP_1) | instid1(VALU_DEP_2)
	v_add_f32_e32 v30, v37, v30
	v_fma_f32 v31, 0x3ed4b147, v32, -v145
	v_dual_add_f32 v119, v128, v130 :: v_dual_add_f32 v28, v30, v28
	v_add_f32_e32 v30, v36, v35
	s_delay_alu instid0(VALU_DEP_2) | instskip(NEXT) | instid1(VALU_DEP_2)
	v_dual_add_f32 v24, v149, v24 :: v_dual_add_f32 v27, v28, v27
	v_add_f32_e32 v28, v33, v30
	v_or_b32_e32 v30, v34, v83
	s_delay_alu instid0(VALU_DEP_1) | instskip(NEXT) | instid1(VALU_DEP_1)
	v_dual_add_f32 v24, v148, v24 :: v_dual_lshlrev_b32 v29, 3, v30
	v_add_f32_e32 v32, v196, v24
	v_add_f32_e32 v24, v27, v26
	;; [unrolled: 1-line block ×3, first 2 shown]
	s_delay_alu instid0(VALU_DEP_3)
	v_add_f32_e32 v26, v189, v32
	ds_store_2addr_stride64_b64 v29, v[24:25], v[69:70] offset1:1
	ds_store_2addr_stride64_b64 v29, v[119:120], v[138:139] offset0:2 offset1:3
	ds_store_2addr_stride64_b64 v29, v[143:144], v[160:161] offset0:4 offset1:5
	;; [unrolled: 1-line block ×4, first 2 shown]
	ds_store_b64 v29, v[77:78] offset:5120
.LBB0_5:
	s_wait_alu 0xfffe
	s_or_b32 exec_lo, exec_lo, s2
	global_wb scope:SCOPE_SE
	s_wait_dscnt 0x0
	s_barrier_signal -1
	s_barrier_wait -1
	global_inv scope:SCOPE_SE
	s_clause 0x3
	global_load_b64 v[69:70], v82, s[10:11] offset:5616
	global_load_b64 v[71:72], v82, s[10:11] offset:7024
	;; [unrolled: 1-line block ×4, first 2 shown]
	v_add_nc_u32_e32 v26, 0x1400, v82
	v_add_nc_u32_e32 v24, 0x2000, v82
	ds_load_2addr_b64 v[27:30], v26 offset0:64 offset1:240
	ds_load_2addr_b64 v[31:34], v24 offset0:32 offset1:208
	v_add_nc_u32_e32 v25, 0xa00, v82
	ds_load_2addr_b64 v[35:38], v82 offset1:176
	v_add_nc_u32_e32 v127, 0x1a00, v82
	s_add_nc_u64 s[2:3], s[8:9], 0x2c00
	v_add_nc_u32_e32 v128, 0x400, v82
	s_wait_loadcnt_dscnt 0x202
	v_mul_f32_e32 v116, v30, v72
	ds_load_2addr_b64 v[111:114], v25 offset0:32 offset1:208
	s_wait_loadcnt_dscnt 0x2
	v_mul_f32_e32 v120, v34, v76
	v_mul_f32_e32 v117, v29, v72
	;; [unrolled: 1-line block ×3, first 2 shown]
	v_dual_mul_f32 v118, v32, v74 :: v_dual_mul_f32 v121, v33, v76
	v_fma_f32 v29, v29, v71, -v116
	s_delay_alu instid0(VALU_DEP_4)
	v_fmac_f32_e32 v117, v30, v71
	v_mul_f32_e32 v39, v28, v70
	v_fmac_f32_e32 v119, v32, v73
	v_mul_f32_e32 v115, v27, v70
	v_fma_f32 v31, v31, v73, -v118
	s_wait_dscnt 0x1
	v_sub_f32_e32 v30, v38, v117
	v_fma_f32 v27, v27, v69, -v39
	v_fma_f32 v33, v33, v75, -v120
	v_fmac_f32_e32 v121, v34, v75
	v_sub_f32_e32 v29, v37, v29
	v_fma_f32 v38, v38, 2.0, -v30
	s_wait_dscnt 0x0
	s_delay_alu instid0(VALU_DEP_3)
	v_dual_sub_f32 v27, v35, v27 :: v_dual_sub_f32 v34, v114, v121
	v_sub_f32_e32 v32, v112, v119
	v_fmac_f32_e32 v115, v28, v69
	v_sub_f32_e32 v31, v111, v31
	v_sub_f32_e32 v33, v113, v33
	v_fma_f32 v35, v35, 2.0, -v27
	v_fma_f32 v37, v37, 2.0, -v29
	v_sub_f32_e32 v28, v36, v115
	v_fma_f32 v111, v111, 2.0, -v31
	v_fma_f32 v112, v112, 2.0, -v32
	;; [unrolled: 1-line block ×5, first 2 shown]
	ds_store_b64 v82, v[27:28] offset:5632
	ds_store_2addr_b64 v82, v[35:36], v[37:38] offset1:176
	ds_store_2addr_b64 v127, v[29:30], v[31:32] offset0:48 offset1:224
	ds_store_2addr_b64 v25, v[111:112], v[113:114] offset0:32 offset1:208
	ds_store_b64 v82, v[33:34] offset:9856
	global_wb scope:SCOPE_SE
	s_wait_dscnt 0x0
	s_barrier_signal -1
	s_barrier_wait -1
	global_inv scope:SCOPE_SE
	s_clause 0x7
	global_load_b64 v[31:32], v[79:80], off offset:11264
	global_load_b64 v[79:80], v82, s[2:3] offset:1408
	global_load_b64 v[115:116], v82, s[2:3] offset:5632
	;; [unrolled: 1-line block ×7, first 2 shown]
	ds_load_2addr_b64 v[27:30], v82 offset1:176
	s_wait_loadcnt_dscnt 0x700
	v_mul_f32_e32 v34, v28, v32
	v_mul_f32_e32 v33, v27, v32
	s_delay_alu instid0(VALU_DEP_2) | instskip(SKIP_1) | instid1(VALU_DEP_2)
	v_fma_f32 v32, v27, v31, -v34
	s_wait_loadcnt 0x6
	v_dual_fmac_f32 v33, v28, v31 :: v_dual_mul_f32 v28, v29, v80
	ds_store_b64 v82, v[32:33]
	ds_load_2addr_b64 v[31:34], v26 offset0:64 offset1:240
	ds_load_2addr_b64 v[35:38], v25 offset0:32 offset1:208
	;; [unrolled: 1-line block ×3, first 2 shown]
	v_mul_f32_e32 v27, v30, v80
	v_dual_fmac_f32 v28, v30, v79 :: v_dual_add_nc_u32 v129, 0x1000, v82
	s_delay_alu instid0(VALU_DEP_2)
	v_fma_f32 v27, v29, v79, -v27
	s_wait_loadcnt_dscnt 0x502
	v_mul_f32_e32 v30, v31, v116
	s_wait_loadcnt_dscnt 0x301
	v_mul_f32_e32 v130, v36, v120
	v_dual_mul_f32 v80, v33, v118 :: v_dual_mul_f32 v29, v32, v116
	v_dual_mul_f32 v116, v35, v120 :: v_dual_mul_f32 v79, v34, v118
	s_wait_loadcnt_dscnt 0x100
	v_dual_mul_f32 v120, v37, v124 :: v_dual_mul_f32 v131, v112, v122
	v_mul_f32_e32 v118, v111, v122
	v_mul_f32_e32 v122, v38, v124
	s_wait_loadcnt 0x0
	v_mul_f32_e32 v124, v114, v126
	v_dual_mul_f32 v39, v113, v126 :: v_dual_fmac_f32 v30, v32, v115
	v_fmac_f32_e32 v80, v34, v117
	v_fma_f32 v29, v31, v115, -v29
	v_fma_f32 v115, v35, v119, -v130
	s_delay_alu instid0(VALU_DEP_4)
	v_dual_fmac_f32 v116, v36, v119 :: v_dual_fmac_f32 v39, v114, v125
	v_fma_f32 v79, v33, v117, -v79
	v_fma_f32 v117, v111, v121, -v131
	v_fmac_f32_e32 v118, v112, v121
	v_fma_f32 v119, v37, v123, -v122
	v_fmac_f32_e32 v120, v38, v123
	v_fma_f32 v38, v113, v125, -v124
	ds_store_2addr_b64 v128, v[27:28], v[115:116] offset0:48 offset1:224
	ds_store_2addr_b64 v127, v[79:80], v[117:118] offset0:48 offset1:224
	;; [unrolled: 1-line block ×3, first 2 shown]
	ds_store_b64 v82, v[38:39] offset:9856
	global_wb scope:SCOPE_SE
	s_wait_dscnt 0x0
	s_barrier_signal -1
	s_barrier_wait -1
	global_inv scope:SCOPE_SE
	ds_load_2addr_b64 v[27:30], v82 offset1:176
	ds_load_2addr_b64 v[31:34], v26 offset0:64 offset1:240
	ds_load_2addr_b64 v[35:38], v25 offset0:32 offset1:208
	;; [unrolled: 1-line block ×3, first 2 shown]
	global_wb scope:SCOPE_SE
	s_wait_dscnt 0x0
	s_barrier_signal -1
	s_barrier_wait -1
	global_inv scope:SCOPE_SE
	v_sub_f32_e32 v115, v27, v31
	v_dual_sub_f32 v31, v29, v33 :: v_dual_sub_f32 v116, v28, v32
	v_dual_sub_f32 v119, v35, v111 :: v_dual_sub_f32 v32, v30, v34
	;; [unrolled: 1-line block ×3, first 2 shown]
	v_sub_f32_e32 v124, v38, v114
	v_fma_f32 v113, v27, 2.0, -v115
	v_fma_f32 v114, v28, 2.0, -v116
	;; [unrolled: 1-line block ×8, first 2 shown]
	ds_store_b128 v84, v[113:116]
	ds_store_b128 v110, v[29:32]
	;; [unrolled: 1-line block ×4, first 2 shown]
	global_wb scope:SCOPE_SE
	s_wait_dscnt 0x0
	s_barrier_signal -1
	s_barrier_wait -1
	global_inv scope:SCOPE_SE
	ds_load_2addr_b64 v[27:30], v26 offset0:64 offset1:240
	ds_load_2addr_b64 v[31:34], v24 offset0:32 offset1:208
	ds_load_2addr_b64 v[35:38], v82 offset1:176
	ds_load_2addr_b64 v[108:111], v25 offset0:32 offset1:208
	global_wb scope:SCOPE_SE
	s_wait_dscnt 0x0
	s_barrier_signal -1
	s_barrier_wait -1
	global_inv scope:SCOPE_SE
	v_mul_f32_e32 v80, v58, v30
	v_mul_f32_e32 v112, v58, v32
	;; [unrolled: 1-line block ×3, first 2 shown]
	s_delay_alu instid0(VALU_DEP_3) | instskip(SKIP_1) | instid1(VALU_DEP_4)
	v_dual_mul_f32 v79, v58, v27 :: v_dual_fmac_f32 v80, v57, v29
	v_mul_f32_e32 v84, v58, v29
	v_fmac_f32_e32 v112, v57, v31
	v_mul_f32_e32 v114, v58, v34
	v_mul_f32_e32 v113, v58, v31
	v_dual_mul_f32 v58, v58, v33 :: v_dual_fmac_f32 v39, v57, v27
	v_fma_f32 v28, v57, v28, -v79
	v_sub_f32_e32 v29, v37, v80
	v_fma_f32 v30, v57, v30, -v84
	v_dual_sub_f32 v31, v108, v112 :: v_dual_fmac_f32 v114, v57, v33
	v_fma_f32 v32, v57, v32, -v113
	v_fma_f32 v34, v57, v34, -v58
	v_dual_sub_f32 v27, v35, v39 :: v_dual_sub_f32 v28, v36, v28
	v_sub_f32_e32 v30, v38, v30
	s_delay_alu instid0(VALU_DEP_4) | instskip(NEXT) | instid1(VALU_DEP_4)
	v_dual_sub_f32 v32, v109, v32 :: v_dual_sub_f32 v33, v110, v114
	v_sub_f32_e32 v34, v111, v34
	s_delay_alu instid0(VALU_DEP_4)
	v_fma_f32 v35, v35, 2.0, -v27
	v_fma_f32 v36, v36, 2.0, -v28
	;; [unrolled: 1-line block ×8, first 2 shown]
	ds_store_2addr_b64 v88, v[35:36], v[27:28] offset1:2
	ds_store_2addr_b64 v87, v[37:38], v[29:30] offset1:2
	ds_store_2addr_b64 v86, v[57:58], v[31:32] offset1:2
	ds_store_2addr_b64 v85, v[79:80], v[33:34] offset1:2
	global_wb scope:SCOPE_SE
	s_wait_dscnt 0x0
	s_barrier_signal -1
	s_barrier_wait -1
	global_inv scope:SCOPE_SE
	ds_load_2addr_b64 v[27:30], v26 offset0:64 offset1:240
	ds_load_2addr_b64 v[31:34], v24 offset0:32 offset1:208
	ds_load_2addr_b64 v[35:38], v82 offset1:176
	ds_load_2addr_b64 v[84:87], v25 offset0:32 offset1:208
	global_wb scope:SCOPE_SE
	s_wait_dscnt 0x0
	s_barrier_signal -1
	s_barrier_wait -1
	global_inv scope:SCOPE_SE
	v_mul_f32_e32 v39, v60, v28
	v_mul_f32_e32 v108, v60, v34
	;; [unrolled: 1-line block ×6, first 2 shown]
	v_fmac_f32_e32 v108, v59, v33
	v_mul_f32_e32 v58, v60, v30
	v_dual_mul_f32 v60, v60, v33 :: v_dual_fmac_f32 v39, v59, v27
	v_fma_f32 v28, v59, v28, -v57
	s_delay_alu instid0(VALU_DEP_3)
	v_dual_sub_f32 v33, v86, v108 :: v_dual_fmac_f32 v58, v59, v29
	v_fma_f32 v30, v59, v30, -v79
	v_fma_f32 v32, v59, v32, -v88
	;; [unrolled: 1-line block ×3, first 2 shown]
	v_sub_f32_e32 v27, v35, v39
	v_dual_sub_f32 v29, v37, v58 :: v_dual_fmac_f32 v80, v59, v31
	v_sub_f32_e32 v28, v36, v28
	v_sub_f32_e32 v30, v38, v30
	;; [unrolled: 1-line block ×3, first 2 shown]
	s_delay_alu instid0(VALU_DEP_4)
	v_dual_sub_f32 v34, v87, v34 :: v_dual_sub_f32 v31, v84, v80
	v_fma_f32 v35, v35, 2.0, -v27
	v_fma_f32 v36, v36, 2.0, -v28
	v_fma_f32 v37, v37, 2.0, -v29
	v_fma_f32 v38, v38, 2.0, -v30
	v_fma_f32 v57, v84, 2.0, -v31
	v_fma_f32 v58, v85, 2.0, -v32
	v_fma_f32 v59, v86, 2.0, -v33
	v_fma_f32 v60, v87, 2.0, -v34
	ds_store_2addr_b64 v93, v[35:36], v[27:28] offset1:4
	ds_store_2addr_b64 v92, v[37:38], v[29:30] offset1:4
	;; [unrolled: 1-line block ×4, first 2 shown]
	global_wb scope:SCOPE_SE
	s_wait_dscnt 0x0
	s_barrier_signal -1
	s_barrier_wait -1
	global_inv scope:SCOPE_SE
	ds_load_2addr_b64 v[27:30], v26 offset0:64 offset1:240
	ds_load_2addr_b64 v[31:34], v24 offset0:32 offset1:208
	ds_load_2addr_b64 v[35:38], v82 offset1:176
	ds_load_2addr_b64 v[57:60], v25 offset0:32 offset1:208
	global_wb scope:SCOPE_SE
	s_wait_dscnt 0x0
	s_barrier_signal -1
	s_barrier_wait -1
	global_inv scope:SCOPE_SE
	v_mul_f32_e32 v39, v62, v28
	v_mul_f32_e32 v85, v62, v32
	;; [unrolled: 1-line block ×6, first 2 shown]
	v_dual_fmac_f32 v85, v61, v31 :: v_dual_mul_f32 v80, v62, v30
	v_dual_mul_f32 v62, v62, v33 :: v_dual_fmac_f32 v39, v61, v27
	v_fma_f32 v28, v61, v28, -v79
	v_fma_f32 v30, v61, v30, -v84
	s_delay_alu instid0(VALU_DEP_4)
	v_sub_f32_e32 v31, v57, v85
	v_fmac_f32_e32 v80, v61, v29
	v_fma_f32 v32, v61, v32, -v86
	v_fmac_f32_e32 v87, v61, v33
	v_fma_f32 v34, v61, v34, -v62
	v_dual_sub_f32 v27, v35, v39 :: v_dual_sub_f32 v28, v36, v28
	v_dual_sub_f32 v29, v37, v80 :: v_dual_sub_f32 v30, v38, v30
	s_delay_alu instid0(VALU_DEP_4) | instskip(NEXT) | instid1(VALU_DEP_4)
	v_dual_sub_f32 v32, v58, v32 :: v_dual_sub_f32 v33, v59, v87
	v_sub_f32_e32 v34, v60, v34
	s_delay_alu instid0(VALU_DEP_4)
	v_fma_f32 v35, v35, 2.0, -v27
	v_fma_f32 v36, v36, 2.0, -v28
	;; [unrolled: 1-line block ×8, first 2 shown]
	ds_store_2addr_b64 v97, v[35:36], v[27:28] offset1:8
	ds_store_2addr_b64 v96, v[37:38], v[29:30] offset1:8
	;; [unrolled: 1-line block ×4, first 2 shown]
	global_wb scope:SCOPE_SE
	s_wait_dscnt 0x0
	s_barrier_signal -1
	s_barrier_wait -1
	global_inv scope:SCOPE_SE
	ds_load_2addr_b64 v[27:30], v26 offset0:64 offset1:240
	ds_load_2addr_b64 v[31:34], v24 offset0:32 offset1:208
	ds_load_2addr_b64 v[35:38], v82 offset1:176
	ds_load_2addr_b64 v[57:60], v25 offset0:32 offset1:208
	global_wb scope:SCOPE_SE
	s_wait_dscnt 0x0
	s_barrier_signal -1
	s_barrier_wait -1
	global_inv scope:SCOPE_SE
	v_mul_f32_e32 v39, v64, v28
	v_mul_f32_e32 v85, v64, v34
	;; [unrolled: 1-line block ×5, first 2 shown]
	s_delay_alu instid0(VALU_DEP_4) | instskip(SKIP_3) | instid1(VALU_DEP_4)
	v_dual_mul_f32 v84, v64, v31 :: v_dual_fmac_f32 v85, v63, v33
	v_mul_f32_e32 v62, v64, v30
	v_dual_mul_f32 v64, v64, v33 :: v_dual_fmac_f32 v39, v63, v27
	v_fma_f32 v28, v63, v28, -v61
	v_sub_f32_e32 v33, v59, v85
	s_delay_alu instid0(VALU_DEP_4)
	v_fmac_f32_e32 v62, v63, v29
	v_fma_f32 v30, v63, v30, -v79
	v_fma_f32 v32, v63, v32, -v84
	;; [unrolled: 1-line block ×3, first 2 shown]
	v_sub_f32_e32 v27, v35, v39
	v_dual_sub_f32 v29, v37, v62 :: v_dual_fmac_f32 v80, v63, v31
	v_sub_f32_e32 v28, v36, v28
	v_sub_f32_e32 v30, v38, v30
	;; [unrolled: 1-line block ×3, first 2 shown]
	s_delay_alu instid0(VALU_DEP_4)
	v_dual_sub_f32 v34, v60, v34 :: v_dual_sub_f32 v31, v57, v80
	v_fma_f32 v35, v35, 2.0, -v27
	v_fma_f32 v36, v36, 2.0, -v28
	;; [unrolled: 1-line block ×8, first 2 shown]
	ds_store_2addr_b64 v103, v[35:36], v[27:28] offset1:16
	ds_store_2addr_b64 v102, v[37:38], v[29:30] offset1:16
	;; [unrolled: 1-line block ×4, first 2 shown]
	global_wb scope:SCOPE_SE
	s_wait_dscnt 0x0
	s_barrier_signal -1
	s_barrier_wait -1
	global_inv scope:SCOPE_SE
	ds_load_2addr_b64 v[26:29], v26 offset0:64 offset1:240
	ds_load_2addr_b64 v[30:33], v24 offset0:32 offset1:208
	ds_load_2addr_b64 v[57:60], v82 offset1:176
	ds_load_2addr_b64 v[61:64], v25 offset0:32 offset1:208
	global_wb scope:SCOPE_SE
	s_wait_dscnt 0x0
	s_barrier_signal -1
	s_barrier_wait -1
	global_inv scope:SCOPE_SE
	v_mul_f32_e32 v24, v68, v27
	v_dual_mul_f32 v25, v68, v26 :: v_dual_mul_f32 v34, v66, v29
	v_dual_mul_f32 v35, v66, v28 :: v_dual_mul_f32 v36, v68, v31
	;; [unrolled: 1-line block ×3, first 2 shown]
	v_mul_f32_e32 v38, v99, v32
	v_fmac_f32_e32 v24, v67, v26
	v_fma_f32 v25, v67, v27, -v25
	v_fmac_f32_e32 v34, v98, v28
	v_fma_f32 v28, v98, v29, -v35
	;; [unrolled: 2-line block ×4, first 2 shown]
	v_dual_sub_f32 v26, v57, v24 :: v_dual_sub_f32 v27, v58, v25
	v_dual_sub_f32 v38, v59, v34 :: v_dual_sub_f32 v39, v60, v28
	s_delay_alu instid0(VALU_DEP_3)
	v_sub_f32_e32 v35, v64, v32
	v_dual_sub_f32 v30, v61, v36 :: v_dual_sub_f32 v31, v62, v29
	v_sub_f32_e32 v34, v63, v66
	v_fma_f32 v24, v57, 2.0, -v26
	v_fma_f32 v25, v58, 2.0, -v27
	;; [unrolled: 1-line block ×8, first 2 shown]
	ds_store_2addr_b64 v107, v[24:25], v[26:27] offset1:32
	ds_store_2addr_b64 v106, v[36:37], v[38:39] offset1:32
	;; [unrolled: 1-line block ×4, first 2 shown]
	global_wb scope:SCOPE_SE
	s_wait_dscnt 0x0
	s_barrier_signal -1
	s_barrier_wait -1
	global_inv scope:SCOPE_SE
	s_and_saveexec_b32 s2, vcc_lo
	s_cbranch_execz .LBB0_7
; %bb.6:
	ds_load_2addr_stride64_b64 v[24:27], v82 offset1:2
	ds_load_2addr_stride64_b64 v[36:39], v82 offset0:4 offset1:6
	ds_load_2addr_stride64_b64 v[28:31], v82 offset0:8 offset1:10
	;; [unrolled: 1-line block ×4, first 2 shown]
	ds_load_b64 v[77:78], v82 offset:10240
.LBB0_7:
	s_wait_alu 0xfffe
	s_or_b32 exec_lo, exec_lo, s2
	global_wb scope:SCOPE_SE
	s_wait_dscnt 0x0
	s_barrier_signal -1
	s_barrier_wait -1
	global_inv scope:SCOPE_SE
	s_and_saveexec_b32 s2, vcc_lo
	s_cbranch_execz .LBB0_9
; %bb.8:
	v_dual_mul_f32 v57, v13, v27 :: v_dual_mul_f32 v58, v19, v78
	v_dual_mul_f32 v59, v15, v37 :: v_dual_mul_f32 v60, v17, v23
	v_mul_f32_e32 v19, v19, v77
	s_delay_alu instid0(VALU_DEP_3) | instskip(NEXT) | instid1(VALU_DEP_3)
	v_dual_fmac_f32 v57, v12, v26 :: v_dual_fmac_f32 v58, v18, v77
	v_dual_mul_f32 v26, v13, v26 :: v_dual_fmac_f32 v59, v14, v36
	s_delay_alu instid0(VALU_DEP_4) | instskip(SKIP_1) | instid1(VALU_DEP_4)
	v_dual_fmac_f32 v60, v16, v22 :: v_dual_mul_f32 v15, v15, v36
	v_mul_f32_e32 v36, v5, v39
	v_sub_f32_e32 v13, v57, v58
	v_fma_f32 v18, v18, v78, -v19
	v_fma_f32 v19, v12, v27, -v26
	v_dual_sub_f32 v12, v59, v60 :: v_dual_mul_f32 v17, v17, v22
	v_fma_f32 v14, v14, v37, -v15
	v_mul_f32_e32 v15, 0xbe903f40, v13
	s_delay_alu instid0(VALU_DEP_3) | instskip(NEXT) | instid1(VALU_DEP_4)
	v_dual_mul_f32 v37, v11, v21 :: v_dual_mul_f32 v22, 0x3f0a6770, v12
	v_fma_f32 v16, v16, v23, -v17
	v_dual_add_f32 v17, v18, v19 :: v_dual_fmac_f32 v36, v4, v38
	v_mul_f32_e32 v11, v11, v20
	v_mul_f32_e32 v5, v5, v38
	s_delay_alu instid0(VALU_DEP_3) | instskip(SKIP_1) | instid1(VALU_DEP_2)
	v_dual_add_f32 v23, v16, v14 :: v_dual_fmamk_f32 v26, v17, 0xbf75a155, v15
	v_mul_f32_e32 v86, 0xbe11bafb, v17
	v_dual_mul_f32 v97, 0x3ed4b147, v17 :: v_dual_add_f32 v26, v25, v26
	v_fmac_f32_e32 v37, v10, v20
	s_delay_alu instid0(VALU_DEP_4)
	v_fmamk_f32 v27, v23, 0x3f575c64, v22
	v_fma_f32 v10, v10, v21, -v11
	v_fma_f32 v22, 0x3f575c64, v23, -v22
	v_fmamk_f32 v100, v13, 0x3f68dda4, v97
	v_sub_f32_e32 v38, v36, v37
	v_add_f32_e32 v20, v27, v26
	v_mul_f32_e32 v26, v7, v29
	v_fma_f32 v11, v4, v39, -v5
	v_dual_mul_f32 v4, v9, v34 :: v_dual_mul_f32 v5, v7, v28
	s_delay_alu instid0(VALU_DEP_3) | instskip(SKIP_1) | instid1(VALU_DEP_3)
	v_dual_mul_f32 v7, 0xbf4178ce, v38 :: v_dual_fmac_f32 v26, v6, v28
	v_sub_f32_e32 v63, v14, v16
	v_fma_f32 v28, v8, v35, -v4
	s_delay_alu instid0(VALU_DEP_4) | instskip(SKIP_1) | instid1(VALU_DEP_1)
	v_fma_f32 v29, v6, v29, -v5
	v_mul_f32_e32 v27, v9, v35
	v_dual_fmac_f32 v27, v8, v34 :: v_dual_mul_f32 v34, v1, v31
	s_delay_alu instid0(VALU_DEP_3) | instskip(SKIP_1) | instid1(VALU_DEP_3)
	v_dual_add_f32 v9, v10, v11 :: v_dual_add_f32 v8, v28, v29
	v_add_f32_e32 v67, v37, v36
	v_dual_sub_f32 v21, v26, v27 :: v_dual_fmac_f32 v34, v0, v30
	s_delay_alu instid0(VALU_DEP_3) | instskip(NEXT) | instid1(VALU_DEP_4)
	v_fmamk_f32 v4, v9, 0xbf27a4f4, v7
	v_mul_f32_e32 v94, 0x3f575c64, v8
	v_mul_f32_e32 v114, 0xbf27a4f4, v8
	s_delay_alu instid0(VALU_DEP_3) | instskip(SKIP_4) | instid1(VALU_DEP_4)
	v_dual_mul_f32 v113, 0xbe11bafb, v9 :: v_dual_add_f32 v4, v4, v20
	v_sub_f32_e32 v39, v19, v18
	v_mul_f32_e32 v35, v3, v33
	v_mul_f32_e32 v3, v3, v32
	v_fma_f32 v7, 0xbf27a4f4, v9, -v7
	v_dual_add_f32 v19, v19, v25 :: v_dual_mul_f32 v62, 0xbe903f40, v39
	s_delay_alu instid0(VALU_DEP_4) | instskip(SKIP_3) | instid1(VALU_DEP_4)
	v_dual_fmac_f32 v35, v2, v32 :: v_dual_sub_f32 v32, v11, v10
	v_mul_f32_e32 v66, 0x3f0a6770, v63
	v_mul_f32_e32 v5, 0x3f68dda4, v21
	v_add_f32_e32 v65, v60, v59
	v_sub_f32_e32 v20, v34, v35
	v_dual_mul_f32 v68, 0xbf4178ce, v32 :: v_dual_add_f32 v61, v58, v57
	s_delay_alu instid0(VALU_DEP_4) | instskip(SKIP_3) | instid1(VALU_DEP_4)
	v_dual_fmamk_f32 v6, v8, 0x3ed4b147, v5 :: v_dual_add_f32 v79, v35, v34
	v_mul_f32_e32 v96, 0x3e903f40, v63
	v_mul_f32_e32 v88, 0xbf75a155, v23
	v_fma_f32 v5, 0x3ed4b147, v8, -v5
	v_add_f32_e32 v4, v6, v4
	v_mul_f32_e32 v6, 0xbf7d64f0, v20
	v_fma_f32 v64, 0xbf75a155, v61, -v62
	v_dual_mul_f32 v1, v1, v30 :: v_dual_fmac_f32 v62, 0xbf75a155, v61
	v_fmamk_f32 v91, v12, 0xbe903f40, v88
	v_mul_f32_e32 v98, 0x3f68dda4, v32
	s_delay_alu instid0(VALU_DEP_4) | instskip(SKIP_4) | instid1(VALU_DEP_4)
	v_add_f32_e32 v30, v24, v64
	v_fma_f32 v64, 0x3f575c64, v65, -v66
	v_fma_f32 v31, v0, v31, -v1
	v_fmac_f32_e32 v66, 0x3f575c64, v65
	v_dual_add_f32 v100, v25, v100 :: v_dual_mul_f32 v101, 0xbf27a4f4, v23
	v_add_f32_e32 v0, v64, v30
	v_fma_f32 v33, v2, v33, -v3
	v_dual_sub_f32 v77, v29, v28 :: v_dual_add_f32 v30, v27, v26
	v_fma_f32 v1, 0xbf27a4f4, v67, -v68
	v_fmac_f32_e32 v68, 0xbf27a4f4, v67
	s_delay_alu instid0(VALU_DEP_4) | instskip(NEXT) | instid1(VALU_DEP_4)
	v_sub_f32_e32 v78, v31, v33
	v_mul_f32_e32 v2, 0x3f68dda4, v77
	v_add_f32_e32 v64, v33, v31
	v_add_f32_e32 v0, v1, v0
	v_fma_f32 v1, 0xbf75a155, v17, -v15
	v_mul_f32_e32 v15, 0xbf7d64f0, v78
	v_fma_f32 v3, 0x3ed4b147, v30, -v2
	v_fmac_f32_e32 v2, 0x3ed4b147, v30
	v_mul_f32_e32 v90, 0xbe903f40, v77
	v_mul_f32_e32 v92, 0x3ed4b147, v9
	s_delay_alu instid0(VALU_DEP_4)
	v_dual_fmamk_f32 v103, v12, 0x3f4178ce, v101 :: v_dual_add_f32 v0, v3, v0
	v_fma_f32 v3, 0xbe11bafb, v79, -v15
	v_fmac_f32_e32 v15, 0xbe11bafb, v79
	v_mul_f32_e32 v104, 0xbf75a155, v9
	v_mul_f32_e32 v85, 0x3ed4b147, v64
	v_add_f32_e32 v100, v103, v100
	v_dual_add_f32 v0, v3, v0 :: v_dual_add_f32 v3, v24, v62
	v_fmamk_f32 v80, v64, 0xbe11bafb, v6
	v_mul_f32_e32 v62, 0xbe11bafb, v23
	v_fma_f32 v6, 0xbe11bafb, v64, -v6
	v_fmamk_f32 v103, v38, 0xbe903f40, v104
	v_dual_add_f32 v3, v66, v3 :: v_dual_add_f32 v84, v25, v1
	v_dual_add_f32 v1, v80, v4 :: v_dual_mul_f32 v66, 0x3f575c64, v9
	v_mul_f32_e32 v111, 0x3f7d64f0, v77
	s_delay_alu instid0(VALU_DEP_3) | instskip(SKIP_3) | instid1(VALU_DEP_4)
	v_dual_add_f32 v3, v68, v3 :: v_dual_add_f32 v4, v22, v84
	v_mul_f32_e32 v84, 0x3f7d64f0, v63
	v_mul_f32_e32 v106, 0xbe11bafb, v8
	v_dual_mul_f32 v107, 0xbf68dda4, v39 :: v_dual_add_f32 v100, v103, v100
	v_add_f32_e32 v4, v7, v4
	s_delay_alu instid0(VALU_DEP_3) | instskip(SKIP_2) | instid1(VALU_DEP_4)
	v_dual_add_f32 v2, v2, v3 :: v_dual_fmamk_f32 v103, v21, 0xbf7d64f0, v106
	v_mul_f32_e32 v87, 0xbf0a6770, v32
	v_mul_f32_e32 v109, 0x3f575c64, v64
	v_add_f32_e32 v4, v5, v4
	v_mul_f32_e32 v22, 0xbf27a4f4, v17
	v_dual_add_f32 v2, v15, v2 :: v_dual_fmamk_f32 v15, v13, 0x3f7d64f0, v86
	v_mul_f32_e32 v93, 0x3f68dda4, v78
	s_delay_alu instid0(VALU_DEP_4) | instskip(NEXT) | instid1(VALU_DEP_4)
	v_add_f32_e32 v3, v6, v4
	v_fmamk_f32 v7, v13, 0x3f4178ce, v22
	v_fmamk_f32 v6, v65, 0xbe11bafb, v84
	v_add_f32_e32 v15, v25, v15
	v_mul_f32_e32 v95, 0xbf7d64f0, v39
	v_mul_f32_e32 v105, 0xbf4178ce, v78
	v_add_f32_e32 v5, v25, v7
	v_fmamk_f32 v7, v12, 0xbf7d64f0, v62
	v_add_f32_e32 v15, v91, v15
	v_fmamk_f32 v91, v38, 0xbf68dda4, v92
	v_mul_f32_e32 v68, 0xbf75a155, v8
	s_delay_alu instid0(VALU_DEP_4) | instskip(SKIP_1) | instid1(VALU_DEP_4)
	v_dual_fmamk_f32 v8, v20, 0xbf0a6770, v109 :: v_dual_add_f32 v5, v7, v5
	v_fmamk_f32 v7, v38, 0x3f0a6770, v66
	v_add_f32_e32 v15, v91, v15
	v_fmamk_f32 v91, v21, 0x3f0a6770, v94
	v_mul_f32_e32 v102, 0xbf0a6770, v77
	v_mul_f32_e32 v23, 0x3ed4b147, v23
	v_add_f32_e32 v5, v7, v5
	v_fmamk_f32 v7, v21, 0x3e903f40, v68
	v_mul_f32_e32 v108, 0xbf4178ce, v63
	v_fmac_f32_e32 v22, 0xbf4178ce, v13
	v_fmamk_f32 v112, v12, 0x3f68dda4, v23
	s_delay_alu instid0(VALU_DEP_4) | instskip(SKIP_3) | instid1(VALU_DEP_4)
	v_dual_add_f32 v14, v14, v19 :: v_dual_add_f32 v5, v7, v5
	v_fmamk_f32 v7, v20, 0xbf68dda4, v85
	v_mul_f32_e32 v80, 0xbf4178ce, v39
	v_mul_f32_e32 v39, 0xbf0a6770, v39
	v_add_f32_e32 v11, v11, v14
	s_delay_alu instid0(VALU_DEP_4) | instskip(NEXT) | instid1(VALU_DEP_4)
	v_dual_add_f32 v22, v25, v22 :: v_dual_add_f32 v5, v7, v5
	v_dual_fmamk_f32 v4, v61, 0xbf27a4f4, v80 :: v_dual_add_f32 v7, v91, v15
	v_mul_f32_e32 v91, 0xbf27a4f4, v64
	v_fmamk_f32 v15, v65, 0xbf75a155, v96
	s_delay_alu instid0(VALU_DEP_3) | instskip(SKIP_1) | instid1(VALU_DEP_4)
	v_dual_add_f32 v11, v29, v11 :: v_dual_add_f32 v4, v24, v4
	v_fmac_f32_e32 v62, 0x3f7d64f0, v12
	v_fmamk_f32 v99, v20, 0x3f4178ce, v91
	s_delay_alu instid0(VALU_DEP_3) | instskip(NEXT) | instid1(VALU_DEP_4)
	v_dual_fmac_f32 v66, 0xbf0a6770, v38 :: v_dual_add_f32 v31, v31, v11
	v_add_f32_e32 v4, v6, v4
	v_fmamk_f32 v6, v67, 0x3f575c64, v87
	s_delay_alu instid0(VALU_DEP_4) | instskip(SKIP_2) | instid1(VALU_DEP_4)
	v_add_f32_e32 v7, v99, v7
	v_dual_fmamk_f32 v99, v61, 0x3ed4b147, v107 :: v_dual_add_f32 v22, v62, v22
	v_fmac_f32_e32 v68, 0xbe903f40, v21
	v_add_f32_e32 v4, v6, v4
	v_fmamk_f32 v6, v30, 0xbf75a155, v90
	v_fmac_f32_e32 v86, 0xbf7d64f0, v13
	v_fmac_f32_e32 v88, 0x3e903f40, v12
	s_delay_alu instid0(VALU_DEP_3) | instskip(SKIP_1) | instid1(VALU_DEP_1)
	v_add_f32_e32 v4, v6, v4
	v_fmamk_f32 v6, v79, 0x3ed4b147, v93
	v_add_f32_e32 v4, v6, v4
	v_fmamk_f32 v6, v61, 0xbe11bafb, v95
	s_delay_alu instid0(VALU_DEP_1) | instskip(NEXT) | instid1(VALU_DEP_1)
	v_add_f32_e32 v6, v24, v6
	v_add_f32_e32 v6, v15, v6
	v_fmamk_f32 v15, v67, 0x3ed4b147, v98
	v_dual_fmac_f32 v85, 0x3f68dda4, v20 :: v_dual_fmac_f32 v92, 0x3f68dda4, v38
	s_delay_alu instid0(VALU_DEP_2) | instskip(NEXT) | instid1(VALU_DEP_1)
	v_dual_add_f32 v6, v15, v6 :: v_dual_fmamk_f32 v15, v30, 0x3f575c64, v102
	v_dual_fmac_f32 v91, 0xbf4178ce, v20 :: v_dual_add_f32 v6, v15, v6
	v_fmamk_f32 v15, v79, 0xbf27a4f4, v105
	s_delay_alu instid0(VALU_DEP_1) | instskip(SKIP_4) | instid1(VALU_DEP_2)
	v_add_f32_e32 v6, v15, v6
	v_dual_add_f32 v15, v103, v100 :: v_dual_mul_f32 v100, 0x3f575c64, v17
	v_add_f32_e32 v17, v24, v99
	v_fmamk_f32 v99, v65, 0xbf27a4f4, v108
	v_mul_f32_e32 v103, 0x3e903f40, v32
	v_dual_mul_f32 v32, 0xbf7d64f0, v32 :: v_dual_add_f32 v17, v99, v17
	s_delay_alu instid0(VALU_DEP_2) | instskip(NEXT) | instid1(VALU_DEP_1)
	v_fmamk_f32 v99, v67, 0xbf75a155, v103
	v_add_f32_e32 v9, v99, v17
	v_fmamk_f32 v17, v30, 0xbe11bafb, v111
	v_mul_f32_e32 v99, 0x3f0a6770, v78
	s_delay_alu instid0(VALU_DEP_2) | instskip(NEXT) | instid1(VALU_DEP_2)
	v_add_f32_e32 v17, v17, v9
	v_fmamk_f32 v115, v79, 0x3f575c64, v99
	v_dual_fmamk_f32 v110, v13, 0x3f0a6770, v100 :: v_dual_add_f32 v9, v8, v15
	v_fmac_f32_e32 v100, 0xbf0a6770, v13
	s_delay_alu instid0(VALU_DEP_3) | instskip(NEXT) | instid1(VALU_DEP_3)
	v_add_f32_e32 v8, v115, v17
	v_dual_add_f32 v17, v24, v57 :: v_dual_add_f32 v110, v25, v110
	s_delay_alu instid0(VALU_DEP_1) | instskip(NEXT) | instid1(VALU_DEP_2)
	v_dual_add_f32 v14, v59, v17 :: v_dual_fmamk_f32 v19, v61, 0x3f575c64, v39
	v_add_f32_e32 v110, v112, v110
	v_fmamk_f32 v112, v38, 0x3f7d64f0, v113
	s_delay_alu instid0(VALU_DEP_3) | instskip(SKIP_2) | instid1(VALU_DEP_4)
	v_dual_fmac_f32 v109, 0x3f0a6770, v20 :: v_dual_add_f32 v14, v36, v14
	v_mul_f32_e32 v57, 0xbf68dda4, v63
	v_add_f32_e32 v17, v24, v19
	v_add_f32_e32 v110, v112, v110
	v_fmamk_f32 v112, v21, 0x3f4178ce, v114
	v_dual_add_f32 v14, v26, v14 :: v_dual_mul_f32 v63, 0xbf75a155, v64
	s_delay_alu instid0(VALU_DEP_2) | instskip(NEXT) | instid1(VALU_DEP_2)
	v_dual_mul_f32 v26, 0xbf4178ce, v77 :: v_dual_add_f32 v15, v112, v110
	v_dual_add_f32 v14, v34, v14 :: v_dual_fmamk_f32 v19, v65, 0x3ed4b147, v57
	s_delay_alu instid0(VALU_DEP_3) | instskip(SKIP_2) | instid1(VALU_DEP_4)
	v_fmamk_f32 v29, v20, 0x3e903f40, v63
	v_fmac_f32_e32 v63, 0xbe903f40, v20
	v_fmac_f32_e32 v114, 0xbf4178ce, v21
	v_add_f32_e32 v14, v35, v14
	v_add_f32_e32 v17, v19, v17
	v_fmamk_f32 v19, v67, 0xbe11bafb, v32
	v_add_f32_e32 v11, v29, v15
	v_mul_f32_e32 v29, 0xbe903f40, v78
	v_add_f32_e32 v14, v27, v14
	v_fma_f32 v27, 0xbf75a155, v65, -v96
	v_add_f32_e32 v15, v19, v17
	v_add_f32_e32 v17, v33, v31
	s_delay_alu instid0(VALU_DEP_4) | instskip(SKIP_1) | instid1(VALU_DEP_2)
	v_dual_fmamk_f32 v19, v30, 0xbf27a4f4, v26 :: v_dual_add_f32 v14, v37, v14
	v_fma_f32 v31, 0xbf27a4f4, v79, -v105
	v_add_f32_e32 v15, v19, v15
	s_delay_alu instid0(VALU_DEP_3) | instskip(SKIP_2) | instid1(VALU_DEP_3)
	v_dual_fmamk_f32 v19, v79, 0xbf75a155, v29 :: v_dual_add_f32 v14, v60, v14
	v_add_f32_e32 v17, v28, v17
	v_fma_f32 v28, 0x3ed4b147, v61, -v107
	v_add_f32_e32 v14, v58, v14
	s_delay_alu instid0(VALU_DEP_3) | instskip(SKIP_1) | instid1(VALU_DEP_2)
	v_dual_add_f32 v17, v10, v17 :: v_dual_add_f32 v10, v19, v15
	v_fma_f32 v19, 0xbe11bafb, v61, -v95
	v_add_f32_e32 v15, v16, v17
	v_fma_f32 v16, 0xbf27a4f4, v61, -v80
	v_add_f32_e32 v17, v66, v22
	s_delay_alu instid0(VALU_DEP_4) | instskip(NEXT) | instid1(VALU_DEP_3)
	v_dual_add_f32 v19, v24, v19 :: v_dual_add_f32 v22, v25, v86
	v_dual_add_f32 v15, v18, v15 :: v_dual_add_f32 v16, v24, v16
	v_fma_f32 v18, 0xbe11bafb, v65, -v84
	s_delay_alu instid0(VALU_DEP_3) | instskip(SKIP_1) | instid1(VALU_DEP_3)
	v_dual_add_f32 v22, v88, v22 :: v_dual_add_f32 v19, v27, v19
	v_fma_f32 v27, 0x3ed4b147, v67, -v98
	v_add_f32_e32 v16, v18, v16
	v_fma_f32 v18, 0x3f575c64, v67, -v87
	s_delay_alu instid0(VALU_DEP_4) | instskip(NEXT) | instid1(VALU_DEP_2)
	v_add_f32_e32 v22, v92, v22
	v_dual_add_f32 v17, v68, v17 :: v_dual_add_f32 v16, v18, v16
	v_fma_f32 v18, 0xbf75a155, v30, -v90
	s_delay_alu instid0(VALU_DEP_1) | instskip(SKIP_1) | instid1(VALU_DEP_1)
	v_dual_add_f32 v17, v85, v17 :: v_dual_add_f32 v16, v18, v16
	v_fma_f32 v18, 0x3ed4b147, v79, -v93
	v_dual_fmac_f32 v97, 0xbf68dda4, v13 :: v_dual_add_f32 v16, v18, v16
	s_delay_alu instid0(VALU_DEP_1) | instskip(SKIP_1) | instid1(VALU_DEP_1)
	v_dual_add_f32 v18, v27, v19 :: v_dual_add_f32 v27, v25, v97
	v_fma_f32 v19, 0x3f575c64, v30, -v102
	v_dual_fmac_f32 v101, 0xbf4178ce, v12 :: v_dual_add_f32 v18, v19, v18
	s_delay_alu instid0(VALU_DEP_1) | instskip(NEXT) | instid1(VALU_DEP_1)
	v_dual_fmac_f32 v94, 0xbf0a6770, v21 :: v_dual_add_f32 v27, v101, v27
	v_add_f32_e32 v22, v94, v22
	s_delay_alu instid0(VALU_DEP_1) | instskip(SKIP_3) | instid1(VALU_DEP_3)
	v_dual_add_f32 v19, v91, v22 :: v_dual_add_f32 v22, v24, v28
	v_fma_f32 v28, 0xbf27a4f4, v65, -v108
	v_fmac_f32_e32 v106, 0x3f7d64f0, v21
	v_fma_f32 v21, 0xbf27a4f4, v30, -v26
	v_add_f32_e32 v13, v28, v22
	v_fma_f32 v22, 0xbf75a155, v67, -v103
	v_fma_f32 v28, 0x3f575c64, v61, -v39
	v_fmac_f32_e32 v23, 0xbf68dda4, v12
	v_fmac_f32_e32 v104, 0x3e903f40, v38
	v_add_f32_e32 v18, v31, v18
	s_delay_alu instid0(VALU_DEP_4) | instskip(SKIP_4) | instid1(VALU_DEP_3)
	v_dual_add_f32 v12, v22, v13 :: v_dual_add_f32 v13, v24, v28
	v_add_f32_e32 v25, v25, v100
	v_fma_f32 v24, 0xbe11bafb, v30, -v111
	v_fma_f32 v22, 0x3ed4b147, v65, -v57
	v_add_f32_e32 v27, v104, v27
	v_dual_add_f32 v23, v23, v25 :: v_dual_add_f32 v12, v24, v12
	v_mul_u32_u24_e32 v24, 0x2c0, v89
	v_fma_f32 v25, 0xbf75a155, v79, -v29
	s_delay_alu instid0(VALU_DEP_4) | instskip(NEXT) | instid1(VALU_DEP_3)
	v_add_f32_e32 v27, v106, v27
	v_or_b32_e32 v24, v24, v83
	v_add_f32_e32 v13, v22, v13
	v_fma_f32 v22, 0xbe11bafb, v67, -v32
	s_delay_alu instid0(VALU_DEP_1) | instskip(SKIP_2) | instid1(VALU_DEP_3)
	v_dual_add_f32 v13, v22, v13 :: v_dual_lshlrev_b32 v24, 3, v24
	v_fmac_f32_e32 v113, 0xbf7d64f0, v38
	v_fma_f32 v22, 0x3f575c64, v79, -v99
	v_add_f32_e32 v20, v21, v13
	s_delay_alu instid0(VALU_DEP_2) | instskip(SKIP_1) | instid1(VALU_DEP_2)
	v_dual_add_f32 v23, v113, v23 :: v_dual_add_f32 v12, v22, v12
	v_add_f32_e32 v13, v109, v27
	v_dual_add_f32 v20, v25, v20 :: v_dual_add_f32 v23, v114, v23
	s_delay_alu instid0(VALU_DEP_1)
	v_add_f32_e32 v21, v63, v23
	ds_store_2addr_stride64_b64 v24, v[14:15], v[10:11] offset1:1
	ds_store_2addr_stride64_b64 v24, v[8:9], v[6:7] offset0:2 offset1:3
	ds_store_2addr_stride64_b64 v24, v[4:5], v[2:3] offset0:4 offset1:5
	;; [unrolled: 1-line block ×4, first 2 shown]
	ds_store_b64 v24, v[20:21] offset:5120
.LBB0_9:
	s_wait_alu 0xfffe
	s_or_b32 exec_lo, exec_lo, s2
	v_add_nc_u32_e32 v16, 0x1400, v82
	v_add_nc_u32_e32 v17, 0x2000, v82
	global_wb scope:SCOPE_SE
	s_wait_dscnt 0x0
	s_barrier_signal -1
	s_barrier_wait -1
	global_inv scope:SCOPE_SE
	ds_load_2addr_b64 v[0:3], v16 offset0:64 offset1:240
	ds_load_2addr_b64 v[4:7], v17 offset0:32 offset1:208
	v_add_nc_u32_e32 v18, 0xa00, v82
	v_mad_co_u64_u32 v[32:33], null, s6, v40, 0
	v_mad_co_u64_u32 v[34:35], null, s4, v81, 0
	s_mov_b32 s2, 0x745d1746
	s_mov_b32 s3, 0x3f4745d1
	s_delay_alu instid0(VALU_DEP_1)
	v_mad_co_u64_u32 v[36:37], null, s7, v40, v[33:34]
	s_wait_dscnt 0x1
	v_mul_f32_e32 v21, v72, v3
	ds_load_2addr_b64 v[8:11], v82 offset1:176
	ds_load_2addr_b64 v[12:15], v18 offset0:32 offset1:208
	v_mul_f32_e32 v19, v70, v1
	v_mul_f32_e32 v20, v70, v0
	s_wait_dscnt 0x2
	v_dual_mul_f32 v22, v72, v2 :: v_dual_mul_f32 v23, v74, v5
	s_delay_alu instid0(VALU_DEP_3) | instskip(SKIP_4) | instid1(VALU_DEP_4)
	v_dual_mul_f32 v26, v76, v6 :: v_dual_fmac_f32 v19, v69, v0
	v_dual_mul_f32 v24, v74, v4 :: v_dual_mul_f32 v25, v76, v7
	v_fmac_f32_e32 v21, v71, v2
	v_fma_f32 v1, v69, v1, -v20
	v_fma_f32 v3, v71, v3, -v22
	;; [unrolled: 1-line block ×4, first 2 shown]
	v_mad_co_u64_u32 v[37:38], null, s5, v81, v[35:36]
	v_mov_b32_e32 v33, v36
	s_wait_dscnt 0x1
	v_dual_sub_f32 v0, v8, v19 :: v_dual_fmac_f32 v23, v73, v4
	v_dual_sub_f32 v2, v10, v21 :: v_dual_fmac_f32 v25, v75, v6
	v_sub_f32_e32 v1, v9, v1
	s_wait_dscnt 0x0
	s_delay_alu instid0(VALU_DEP_3) | instskip(NEXT) | instid1(VALU_DEP_3)
	v_dual_sub_f32 v5, v13, v5 :: v_dual_sub_f32 v4, v12, v23
	v_dual_sub_f32 v3, v11, v3 :: v_dual_sub_f32 v6, v14, v25
	v_sub_f32_e32 v7, v15, v7
	v_fma_f32 v8, v8, 2.0, -v0
	v_fma_f32 v9, v9, 2.0, -v1
	;; [unrolled: 1-line block ×4, first 2 shown]
	v_add_nc_u32_e32 v19, 0x1a00, v82
	v_fma_f32 v12, v12, 2.0, -v4
	v_fma_f32 v13, v13, 2.0, -v5
	;; [unrolled: 1-line block ×4, first 2 shown]
	ds_store_b64 v82, v[0:1] offset:5632
	ds_store_2addr_b64 v82, v[8:9], v[10:11] offset1:176
	ds_store_2addr_b64 v19, v[2:3], v[4:5] offset0:48 offset1:224
	ds_store_2addr_b64 v18, v[12:13], v[14:15] offset0:32 offset1:208
	ds_store_b64 v82, v[6:7] offset:9856
	global_wb scope:SCOPE_SE
	s_wait_dscnt 0x0
	s_barrier_signal -1
	s_barrier_wait -1
	global_inv scope:SCOPE_SE
	ds_load_2addr_b64 v[0:3], v82 offset1:176
	ds_load_2addr_b64 v[4:7], v16 offset0:64 offset1:240
	ds_load_2addr_b64 v[8:11], v18 offset0:32 offset1:208
	;; [unrolled: 1-line block ×3, first 2 shown]
	v_mov_b32_e32 v35, v37
	v_lshlrev_b64_e32 v[32:33], 3, v[32:33]
	s_delay_alu instid0(VALU_DEP_2) | instskip(NEXT) | instid1(VALU_DEP_2)
	v_lshlrev_b64_e32 v[34:35], 3, v[34:35]
	v_add_co_u32 v32, vcc_lo, s0, v32
	s_wait_alu 0xfffd
	s_delay_alu instid0(VALU_DEP_3)
	v_add_co_ci_u32_e32 v33, vcc_lo, s1, v33, vcc_lo
	s_movk_i32 s0, 0xef80
	s_mov_b32 s1, -1
	v_add_co_u32 v32, vcc_lo, v32, v34
	s_wait_alu 0xfffe
	s_mul_u64 s[0:1], s[4:5], s[0:1]
	s_wait_dscnt 0x3
	v_mul_f32_e32 v16, v44, v1
	s_wait_dscnt 0x2
	v_mul_f32_e32 v18, v56, v5
	v_dual_mul_f32 v20, v46, v3 :: v_dual_mul_f32 v17, v44, v0
	s_wait_dscnt 0x0
	v_dual_mul_f32 v19, v56, v4 :: v_dual_mul_f32 v26, v42, v13
	v_dual_mul_f32 v21, v46, v2 :: v_dual_fmac_f32 v16, v43, v0
	s_delay_alu instid0(VALU_DEP_3)
	v_fmac_f32_e32 v20, v45, v2
	v_fma_f32 v17, v43, v1, -v17
	v_dual_fmac_f32 v18, v55, v4 :: v_dual_mul_f32 v23, v50, v6
	v_fma_f32 v19, v55, v5, -v19
	v_dual_mul_f32 v24, v48, v9 :: v_dual_mul_f32 v31, v54, v14
	v_dual_mul_f32 v22, v50, v7 :: v_dual_mul_f32 v25, v48, v8
	v_fma_f32 v21, v45, v3, -v21
	v_cvt_f64_f32_e32 v[0:1], v16
	v_cvt_f64_f32_e32 v[2:3], v17
	s_delay_alu instid0(VALU_DEP_4)
	v_fmac_f32_e32 v22, v49, v6
	v_fmac_f32_e32 v26, v41, v12
	v_mul_f32_e32 v12, v42, v12
	v_cvt_f64_f32_e32 v[4:5], v18
	v_cvt_f64_f32_e32 v[16:17], v19
	v_dual_fmac_f32 v24, v47, v8 :: v_dual_mul_f32 v29, v52, v10
	v_mul_f32_e32 v28, v52, v11
	v_mul_f32_e32 v30, v54, v15
	v_fma_f32 v23, v49, v7, -v23
	v_fma_f32 v25, v47, v9, -v25
	;; [unrolled: 1-line block ×3, first 2 shown]
	v_fmac_f32_e32 v28, v51, v10
	v_fma_f32 v29, v51, v11, -v29
	v_fmac_f32_e32 v30, v53, v14
	v_fma_f32 v31, v53, v15, -v31
	v_cvt_f64_f32_e32 v[18:19], v20
	v_cvt_f64_f32_e32 v[20:21], v21
	;; [unrolled: 1-line block ×12, first 2 shown]
	s_wait_alu 0xfffd
	v_add_co_ci_u32_e32 v33, vcc_lo, v33, v35, vcc_lo
	v_mul_f64_e32 v[0:1], s[2:3], v[0:1]
	v_mul_f64_e32 v[2:3], s[2:3], v[2:3]
	v_mul_f64_e32 v[4:5], s[2:3], v[4:5]
	v_mul_f64_e32 v[16:17], s[2:3], v[16:17]
	v_mul_f64_e32 v[18:19], s[2:3], v[18:19]
	v_mul_f64_e32 v[20:21], s[2:3], v[20:21]
	v_mul_f64_e32 v[6:7], s[2:3], v[6:7]
	v_mul_f64_e32 v[8:9], s[2:3], v[8:9]
	v_mul_f64_e32 v[22:23], s[2:3], v[22:23]
	v_mul_f64_e32 v[24:25], s[2:3], v[24:25]
	v_mul_f64_e32 v[26:27], s[2:3], v[26:27]
	v_mul_f64_e32 v[10:11], s[2:3], v[10:11]
	v_mul_f64_e32 v[12:13], s[2:3], v[12:13]
	v_mul_f64_e32 v[14:15], s[2:3], v[14:15]
	v_mul_f64_e32 v[28:29], s[2:3], v[28:29]
	v_mul_f64_e32 v[30:31], s[2:3], v[30:31]
	s_mul_u64 s[2:3], s[4:5], 0x1600
	v_cvt_f32_f64_e32 v0, v[0:1]
	v_cvt_f32_f64_e32 v1, v[2:3]
	;; [unrolled: 1-line block ×16, first 2 shown]
	s_wait_alu 0xfffe
	v_add_co_u32 v14, vcc_lo, v32, s2
	s_wait_alu 0xfffd
	v_add_co_ci_u32_e32 v15, vcc_lo, s3, v33, vcc_lo
	s_clause 0x1
	global_store_b64 v[32:33], v[0:1], off
	global_store_b64 v[14:15], v[2:3], off
	v_add_co_u32 v18, vcc_lo, v14, s0
	s_wait_alu 0xfffd
	v_add_co_ci_u32_e32 v19, vcc_lo, s1, v15, vcc_lo
	s_delay_alu instid0(VALU_DEP_2) | instskip(SKIP_1) | instid1(VALU_DEP_2)
	v_add_co_u32 v20, vcc_lo, v18, s2
	s_wait_alu 0xfffd
	v_add_co_ci_u32_e32 v21, vcc_lo, s3, v19, vcc_lo
	s_delay_alu instid0(VALU_DEP_2) | instskip(SKIP_1) | instid1(VALU_DEP_2)
	v_add_co_u32 v22, vcc_lo, v20, s0
	s_wait_alu 0xfffd
	v_add_co_ci_u32_e32 v23, vcc_lo, s1, v21, vcc_lo
	global_store_b64 v[18:19], v[4:5], off
	v_add_co_u32 v24, vcc_lo, v22, s2
	s_wait_alu 0xfffd
	v_add_co_ci_u32_e32 v25, vcc_lo, s3, v23, vcc_lo
	s_delay_alu instid0(VALU_DEP_2) | instskip(SKIP_1) | instid1(VALU_DEP_2)
	v_add_co_u32 v0, vcc_lo, v24, s0
	s_wait_alu 0xfffd
	v_add_co_ci_u32_e32 v1, vcc_lo, s1, v25, vcc_lo
	s_delay_alu instid0(VALU_DEP_2) | instskip(SKIP_1) | instid1(VALU_DEP_2)
	v_add_co_u32 v2, vcc_lo, v0, s2
	s_wait_alu 0xfffd
	v_add_co_ci_u32_e32 v3, vcc_lo, s3, v1, vcc_lo
	s_clause 0x1
	global_store_b64 v[20:21], v[6:7], off
	global_store_b64 v[22:23], v[8:9], off
	;; [unrolled: 1-line block ×5, first 2 shown]
.LBB0_10:
	s_nop 0
	s_sendmsg sendmsg(MSG_DEALLOC_VGPRS)
	s_endpgm
	.section	.rodata,"a",@progbits
	.p2align	6, 0x0
	.amdhsa_kernel bluestein_single_back_len1408_dim1_sp_op_CI_CI
		.amdhsa_group_segment_fixed_size 11264
		.amdhsa_private_segment_fixed_size 0
		.amdhsa_kernarg_size 104
		.amdhsa_user_sgpr_count 2
		.amdhsa_user_sgpr_dispatch_ptr 0
		.amdhsa_user_sgpr_queue_ptr 0
		.amdhsa_user_sgpr_kernarg_segment_ptr 1
		.amdhsa_user_sgpr_dispatch_id 0
		.amdhsa_user_sgpr_private_segment_size 0
		.amdhsa_wavefront_size32 1
		.amdhsa_uses_dynamic_stack 0
		.amdhsa_enable_private_segment 0
		.amdhsa_system_sgpr_workgroup_id_x 1
		.amdhsa_system_sgpr_workgroup_id_y 0
		.amdhsa_system_sgpr_workgroup_id_z 0
		.amdhsa_system_sgpr_workgroup_info 0
		.amdhsa_system_vgpr_workitem_id 0
		.amdhsa_next_free_vgpr 202
		.amdhsa_next_free_sgpr 20
		.amdhsa_reserve_vcc 1
		.amdhsa_float_round_mode_32 0
		.amdhsa_float_round_mode_16_64 0
		.amdhsa_float_denorm_mode_32 3
		.amdhsa_float_denorm_mode_16_64 3
		.amdhsa_fp16_overflow 0
		.amdhsa_workgroup_processor_mode 1
		.amdhsa_memory_ordered 1
		.amdhsa_forward_progress 0
		.amdhsa_round_robin_scheduling 0
		.amdhsa_exception_fp_ieee_invalid_op 0
		.amdhsa_exception_fp_denorm_src 0
		.amdhsa_exception_fp_ieee_div_zero 0
		.amdhsa_exception_fp_ieee_overflow 0
		.amdhsa_exception_fp_ieee_underflow 0
		.amdhsa_exception_fp_ieee_inexact 0
		.amdhsa_exception_int_div_zero 0
	.end_amdhsa_kernel
	.text
.Lfunc_end0:
	.size	bluestein_single_back_len1408_dim1_sp_op_CI_CI, .Lfunc_end0-bluestein_single_back_len1408_dim1_sp_op_CI_CI
                                        ; -- End function
	.section	.AMDGPU.csdata,"",@progbits
; Kernel info:
; codeLenInByte = 12160
; NumSgprs: 22
; NumVgprs: 202
; ScratchSize: 0
; MemoryBound: 0
; FloatMode: 240
; IeeeMode: 1
; LDSByteSize: 11264 bytes/workgroup (compile time only)
; SGPRBlocks: 2
; VGPRBlocks: 25
; NumSGPRsForWavesPerEU: 22
; NumVGPRsForWavesPerEU: 202
; Occupancy: 7
; WaveLimiterHint : 1
; COMPUTE_PGM_RSRC2:SCRATCH_EN: 0
; COMPUTE_PGM_RSRC2:USER_SGPR: 2
; COMPUTE_PGM_RSRC2:TRAP_HANDLER: 0
; COMPUTE_PGM_RSRC2:TGID_X_EN: 1
; COMPUTE_PGM_RSRC2:TGID_Y_EN: 0
; COMPUTE_PGM_RSRC2:TGID_Z_EN: 0
; COMPUTE_PGM_RSRC2:TIDIG_COMP_CNT: 0
	.text
	.p2alignl 7, 3214868480
	.fill 96, 4, 3214868480
	.type	__hip_cuid_6dc4bb701d23bcde,@object ; @__hip_cuid_6dc4bb701d23bcde
	.section	.bss,"aw",@nobits
	.globl	__hip_cuid_6dc4bb701d23bcde
__hip_cuid_6dc4bb701d23bcde:
	.byte	0                               ; 0x0
	.size	__hip_cuid_6dc4bb701d23bcde, 1

	.ident	"AMD clang version 19.0.0git (https://github.com/RadeonOpenCompute/llvm-project roc-6.4.0 25133 c7fe45cf4b819c5991fe208aaa96edf142730f1d)"
	.section	".note.GNU-stack","",@progbits
	.addrsig
	.addrsig_sym __hip_cuid_6dc4bb701d23bcde
	.amdgpu_metadata
---
amdhsa.kernels:
  - .args:
      - .actual_access:  read_only
        .address_space:  global
        .offset:         0
        .size:           8
        .value_kind:     global_buffer
      - .actual_access:  read_only
        .address_space:  global
        .offset:         8
        .size:           8
        .value_kind:     global_buffer
      - .actual_access:  read_only
        .address_space:  global
        .offset:         16
        .size:           8
        .value_kind:     global_buffer
      - .actual_access:  read_only
        .address_space:  global
        .offset:         24
        .size:           8
        .value_kind:     global_buffer
      - .actual_access:  read_only
        .address_space:  global
        .offset:         32
        .size:           8
        .value_kind:     global_buffer
      - .offset:         40
        .size:           8
        .value_kind:     by_value
      - .address_space:  global
        .offset:         48
        .size:           8
        .value_kind:     global_buffer
      - .address_space:  global
        .offset:         56
        .size:           8
        .value_kind:     global_buffer
      - .address_space:  global
        .offset:         64
        .size:           8
        .value_kind:     global_buffer
      - .address_space:  global
        .offset:         72
        .size:           8
        .value_kind:     global_buffer
      - .offset:         80
        .size:           4
        .value_kind:     by_value
      - .address_space:  global
        .offset:         88
        .size:           8
        .value_kind:     global_buffer
      - .address_space:  global
        .offset:         96
        .size:           8
        .value_kind:     global_buffer
    .group_segment_fixed_size: 11264
    .kernarg_segment_align: 8
    .kernarg_segment_size: 104
    .language:       OpenCL C
    .language_version:
      - 2
      - 0
    .max_flat_workgroup_size: 176
    .name:           bluestein_single_back_len1408_dim1_sp_op_CI_CI
    .private_segment_fixed_size: 0
    .sgpr_count:     22
    .sgpr_spill_count: 0
    .symbol:         bluestein_single_back_len1408_dim1_sp_op_CI_CI.kd
    .uniform_work_group_size: 1
    .uses_dynamic_stack: false
    .vgpr_count:     202
    .vgpr_spill_count: 0
    .wavefront_size: 32
    .workgroup_processor_mode: 1
amdhsa.target:   amdgcn-amd-amdhsa--gfx1201
amdhsa.version:
  - 1
  - 2
...

	.end_amdgpu_metadata
